;; amdgpu-corpus repo=ROCm/rocFFT kind=compiled arch=gfx1201 opt=O3
	.text
	.amdgcn_target "amdgcn-amd-amdhsa--gfx1201"
	.amdhsa_code_object_version 6
	.protected	fft_rtc_fwd_len686_factors_7_7_7_2_wgs_49_tpt_49_dp_op_CI_CI_unitstride_sbrr_R2C_dirReg ; -- Begin function fft_rtc_fwd_len686_factors_7_7_7_2_wgs_49_tpt_49_dp_op_CI_CI_unitstride_sbrr_R2C_dirReg
	.globl	fft_rtc_fwd_len686_factors_7_7_7_2_wgs_49_tpt_49_dp_op_CI_CI_unitstride_sbrr_R2C_dirReg
	.p2align	8
	.type	fft_rtc_fwd_len686_factors_7_7_7_2_wgs_49_tpt_49_dp_op_CI_CI_unitstride_sbrr_R2C_dirReg,@function
fft_rtc_fwd_len686_factors_7_7_7_2_wgs_49_tpt_49_dp_op_CI_CI_unitstride_sbrr_R2C_dirReg: ; @fft_rtc_fwd_len686_factors_7_7_7_2_wgs_49_tpt_49_dp_op_CI_CI_unitstride_sbrr_R2C_dirReg
; %bb.0:
	s_clause 0x2
	s_load_b128 s[8:11], s[0:1], 0x0
	s_load_b128 s[4:7], s[0:1], 0x58
	;; [unrolled: 1-line block ×3, first 2 shown]
	v_mul_u32_u24_e32 v1, 0x53a, v0
	v_mov_b32_e32 v3, 0
	s_delay_alu instid0(VALU_DEP_2) | instskip(NEXT) | instid1(VALU_DEP_1)
	v_lshrrev_b32_e32 v1, 16, v1
	v_add_nc_u32_e32 v5, ttmp9, v1
	v_mov_b32_e32 v1, 0
	v_mov_b32_e32 v2, 0
	;; [unrolled: 1-line block ×3, first 2 shown]
	s_wait_kmcnt 0x0
	v_cmp_lt_u64_e64 s2, s[10:11], 2
	s_delay_alu instid0(VALU_DEP_1)
	s_and_b32 vcc_lo, exec_lo, s2
	s_cbranch_vccnz .LBB0_8
; %bb.1:
	s_load_b64 s[2:3], s[0:1], 0x10
	v_mov_b32_e32 v1, 0
	v_mov_b32_e32 v2, 0
	s_add_nc_u64 s[16:17], s[14:15], 8
	s_add_nc_u64 s[18:19], s[12:13], 8
	s_mov_b64 s[20:21], 1
	s_delay_alu instid0(VALU_DEP_1)
	v_dual_mov_b32 v9, v2 :: v_dual_mov_b32 v8, v1
	s_wait_kmcnt 0x0
	s_add_nc_u64 s[22:23], s[2:3], 8
	s_mov_b32 s3, 0
.LBB0_2:                                ; =>This Inner Loop Header: Depth=1
	s_load_b64 s[24:25], s[22:23], 0x0
                                        ; implicit-def: $vgpr12_vgpr13
	s_mov_b32 s2, exec_lo
	s_wait_kmcnt 0x0
	v_or_b32_e32 v4, s25, v6
	s_delay_alu instid0(VALU_DEP_1)
	v_cmpx_ne_u64_e32 0, v[3:4]
	s_wait_alu 0xfffe
	s_xor_b32 s26, exec_lo, s2
	s_cbranch_execz .LBB0_4
; %bb.3:                                ;   in Loop: Header=BB0_2 Depth=1
	s_cvt_f32_u32 s2, s24
	s_cvt_f32_u32 s27, s25
	s_sub_nc_u64 s[30:31], 0, s[24:25]
	s_wait_alu 0xfffe
	s_delay_alu instid0(SALU_CYCLE_1) | instskip(SKIP_1) | instid1(SALU_CYCLE_2)
	s_fmamk_f32 s2, s27, 0x4f800000, s2
	s_wait_alu 0xfffe
	v_s_rcp_f32 s2, s2
	s_delay_alu instid0(TRANS32_DEP_1) | instskip(SKIP_1) | instid1(SALU_CYCLE_2)
	s_mul_f32 s2, s2, 0x5f7ffffc
	s_wait_alu 0xfffe
	s_mul_f32 s27, s2, 0x2f800000
	s_wait_alu 0xfffe
	s_delay_alu instid0(SALU_CYCLE_2) | instskip(SKIP_1) | instid1(SALU_CYCLE_2)
	s_trunc_f32 s27, s27
	s_wait_alu 0xfffe
	s_fmamk_f32 s2, s27, 0xcf800000, s2
	s_cvt_u32_f32 s29, s27
	s_wait_alu 0xfffe
	s_delay_alu instid0(SALU_CYCLE_1) | instskip(SKIP_1) | instid1(SALU_CYCLE_2)
	s_cvt_u32_f32 s28, s2
	s_wait_alu 0xfffe
	s_mul_u64 s[34:35], s[30:31], s[28:29]
	s_wait_alu 0xfffe
	s_mul_hi_u32 s37, s28, s35
	s_mul_i32 s36, s28, s35
	s_mul_hi_u32 s2, s28, s34
	s_mul_i32 s33, s29, s34
	s_wait_alu 0xfffe
	s_add_nc_u64 s[36:37], s[2:3], s[36:37]
	s_mul_hi_u32 s27, s29, s34
	s_mul_hi_u32 s38, s29, s35
	s_add_co_u32 s2, s36, s33
	s_wait_alu 0xfffe
	s_add_co_ci_u32 s2, s37, s27
	s_mul_i32 s34, s29, s35
	s_add_co_ci_u32 s35, s38, 0
	s_wait_alu 0xfffe
	s_add_nc_u64 s[34:35], s[2:3], s[34:35]
	s_wait_alu 0xfffe
	v_add_co_u32 v4, s2, s28, s34
	s_delay_alu instid0(VALU_DEP_1) | instskip(SKIP_1) | instid1(VALU_DEP_1)
	s_cmp_lg_u32 s2, 0
	s_add_co_ci_u32 s29, s29, s35
	v_readfirstlane_b32 s28, v4
	s_wait_alu 0xfffe
	s_delay_alu instid0(VALU_DEP_1)
	s_mul_u64 s[30:31], s[30:31], s[28:29]
	s_wait_alu 0xfffe
	s_mul_hi_u32 s35, s28, s31
	s_mul_i32 s34, s28, s31
	s_mul_hi_u32 s2, s28, s30
	s_mul_i32 s33, s29, s30
	s_wait_alu 0xfffe
	s_add_nc_u64 s[34:35], s[2:3], s[34:35]
	s_mul_hi_u32 s27, s29, s30
	s_mul_hi_u32 s28, s29, s31
	s_wait_alu 0xfffe
	s_add_co_u32 s2, s34, s33
	s_add_co_ci_u32 s2, s35, s27
	s_mul_i32 s30, s29, s31
	s_add_co_ci_u32 s31, s28, 0
	s_wait_alu 0xfffe
	s_add_nc_u64 s[30:31], s[2:3], s[30:31]
	s_wait_alu 0xfffe
	v_add_co_u32 v4, s2, v4, s30
	s_delay_alu instid0(VALU_DEP_1) | instskip(SKIP_1) | instid1(VALU_DEP_1)
	s_cmp_lg_u32 s2, 0
	s_add_co_ci_u32 s2, s29, s31
	v_mul_hi_u32 v7, v5, v4
	s_wait_alu 0xfffe
	v_mad_co_u64_u32 v[10:11], null, v5, s2, 0
	v_mad_co_u64_u32 v[12:13], null, v6, v4, 0
	;; [unrolled: 1-line block ×3, first 2 shown]
	s_delay_alu instid0(VALU_DEP_3) | instskip(SKIP_1) | instid1(VALU_DEP_4)
	v_add_co_u32 v4, vcc_lo, v7, v10
	s_wait_alu 0xfffd
	v_add_co_ci_u32_e32 v7, vcc_lo, 0, v11, vcc_lo
	s_delay_alu instid0(VALU_DEP_2) | instskip(SKIP_1) | instid1(VALU_DEP_2)
	v_add_co_u32 v4, vcc_lo, v4, v12
	s_wait_alu 0xfffd
	v_add_co_ci_u32_e32 v4, vcc_lo, v7, v13, vcc_lo
	s_wait_alu 0xfffd
	v_add_co_ci_u32_e32 v7, vcc_lo, 0, v15, vcc_lo
	s_delay_alu instid0(VALU_DEP_2) | instskip(SKIP_1) | instid1(VALU_DEP_2)
	v_add_co_u32 v4, vcc_lo, v4, v14
	s_wait_alu 0xfffd
	v_add_co_ci_u32_e32 v7, vcc_lo, 0, v7, vcc_lo
	s_delay_alu instid0(VALU_DEP_2) | instskip(SKIP_1) | instid1(VALU_DEP_3)
	v_mul_lo_u32 v12, s25, v4
	v_mad_co_u64_u32 v[10:11], null, s24, v4, 0
	v_mul_lo_u32 v13, s24, v7
	s_delay_alu instid0(VALU_DEP_2) | instskip(NEXT) | instid1(VALU_DEP_2)
	v_sub_co_u32 v10, vcc_lo, v5, v10
	v_add3_u32 v11, v11, v13, v12
	s_delay_alu instid0(VALU_DEP_1) | instskip(SKIP_1) | instid1(VALU_DEP_1)
	v_sub_nc_u32_e32 v12, v6, v11
	s_wait_alu 0xfffd
	v_subrev_co_ci_u32_e64 v12, s2, s25, v12, vcc_lo
	v_add_co_u32 v13, s2, v4, 2
	s_wait_alu 0xf1ff
	v_add_co_ci_u32_e64 v14, s2, 0, v7, s2
	v_sub_co_u32 v15, s2, v10, s24
	v_sub_co_ci_u32_e32 v11, vcc_lo, v6, v11, vcc_lo
	s_wait_alu 0xf1ff
	v_subrev_co_ci_u32_e64 v12, s2, 0, v12, s2
	s_delay_alu instid0(VALU_DEP_3) | instskip(NEXT) | instid1(VALU_DEP_3)
	v_cmp_le_u32_e32 vcc_lo, s24, v15
	v_cmp_eq_u32_e64 s2, s25, v11
	s_wait_alu 0xfffd
	v_cndmask_b32_e64 v15, 0, -1, vcc_lo
	v_cmp_le_u32_e32 vcc_lo, s25, v12
	s_wait_alu 0xfffd
	v_cndmask_b32_e64 v16, 0, -1, vcc_lo
	v_cmp_le_u32_e32 vcc_lo, s24, v10
	;; [unrolled: 3-line block ×3, first 2 shown]
	s_wait_alu 0xfffd
	v_cndmask_b32_e64 v17, 0, -1, vcc_lo
	v_cmp_eq_u32_e32 vcc_lo, s25, v12
	s_wait_alu 0xf1ff
	s_delay_alu instid0(VALU_DEP_2)
	v_cndmask_b32_e64 v10, v17, v10, s2
	s_wait_alu 0xfffd
	v_cndmask_b32_e32 v12, v16, v15, vcc_lo
	v_add_co_u32 v15, vcc_lo, v4, 1
	s_wait_alu 0xfffd
	v_add_co_ci_u32_e32 v16, vcc_lo, 0, v7, vcc_lo
	s_delay_alu instid0(VALU_DEP_3) | instskip(SKIP_1) | instid1(VALU_DEP_2)
	v_cmp_ne_u32_e32 vcc_lo, 0, v12
	s_wait_alu 0xfffd
	v_dual_cndmask_b32 v11, v16, v14 :: v_dual_cndmask_b32 v12, v15, v13
	v_cmp_ne_u32_e32 vcc_lo, 0, v10
	s_wait_alu 0xfffd
	s_delay_alu instid0(VALU_DEP_2)
	v_dual_cndmask_b32 v13, v7, v11 :: v_dual_cndmask_b32 v12, v4, v12
.LBB0_4:                                ;   in Loop: Header=BB0_2 Depth=1
	s_wait_alu 0xfffe
	s_and_not1_saveexec_b32 s2, s26
	s_cbranch_execz .LBB0_6
; %bb.5:                                ;   in Loop: Header=BB0_2 Depth=1
	v_cvt_f32_u32_e32 v4, s24
	s_sub_co_i32 s26, 0, s24
	v_mov_b32_e32 v13, v3
	s_delay_alu instid0(VALU_DEP_2) | instskip(NEXT) | instid1(TRANS32_DEP_1)
	v_rcp_iflag_f32_e32 v4, v4
	v_mul_f32_e32 v4, 0x4f7ffffe, v4
	s_delay_alu instid0(VALU_DEP_1) | instskip(SKIP_1) | instid1(VALU_DEP_1)
	v_cvt_u32_f32_e32 v4, v4
	s_wait_alu 0xfffe
	v_mul_lo_u32 v7, s26, v4
	s_delay_alu instid0(VALU_DEP_1) | instskip(NEXT) | instid1(VALU_DEP_1)
	v_mul_hi_u32 v7, v4, v7
	v_add_nc_u32_e32 v4, v4, v7
	s_delay_alu instid0(VALU_DEP_1) | instskip(NEXT) | instid1(VALU_DEP_1)
	v_mul_hi_u32 v4, v5, v4
	v_mul_lo_u32 v7, v4, s24
	v_add_nc_u32_e32 v10, 1, v4
	s_delay_alu instid0(VALU_DEP_2) | instskip(NEXT) | instid1(VALU_DEP_1)
	v_sub_nc_u32_e32 v7, v5, v7
	v_subrev_nc_u32_e32 v11, s24, v7
	v_cmp_le_u32_e32 vcc_lo, s24, v7
	s_wait_alu 0xfffd
	s_delay_alu instid0(VALU_DEP_2) | instskip(NEXT) | instid1(VALU_DEP_1)
	v_dual_cndmask_b32 v7, v7, v11 :: v_dual_cndmask_b32 v4, v4, v10
	v_cmp_le_u32_e32 vcc_lo, s24, v7
	s_delay_alu instid0(VALU_DEP_2) | instskip(SKIP_1) | instid1(VALU_DEP_1)
	v_add_nc_u32_e32 v10, 1, v4
	s_wait_alu 0xfffd
	v_cndmask_b32_e32 v12, v4, v10, vcc_lo
.LBB0_6:                                ;   in Loop: Header=BB0_2 Depth=1
	s_wait_alu 0xfffe
	s_or_b32 exec_lo, exec_lo, s2
	v_mul_lo_u32 v4, v13, s24
	s_delay_alu instid0(VALU_DEP_2)
	v_mul_lo_u32 v7, v12, s25
	s_load_b64 s[26:27], s[18:19], 0x0
	v_mad_co_u64_u32 v[10:11], null, v12, s24, 0
	s_load_b64 s[24:25], s[16:17], 0x0
	s_add_nc_u64 s[20:21], s[20:21], 1
	s_add_nc_u64 s[16:17], s[16:17], 8
	s_wait_alu 0xfffe
	v_cmp_ge_u64_e64 s2, s[20:21], s[10:11]
	s_add_nc_u64 s[18:19], s[18:19], 8
	s_add_nc_u64 s[22:23], s[22:23], 8
	v_add3_u32 v4, v11, v7, v4
	v_sub_co_u32 v5, vcc_lo, v5, v10
	s_wait_alu 0xfffd
	s_delay_alu instid0(VALU_DEP_2) | instskip(SKIP_2) | instid1(VALU_DEP_1)
	v_sub_co_ci_u32_e32 v4, vcc_lo, v6, v4, vcc_lo
	s_and_b32 vcc_lo, exec_lo, s2
	s_wait_kmcnt 0x0
	v_mul_lo_u32 v6, s26, v4
	v_mul_lo_u32 v7, s27, v5
	v_mad_co_u64_u32 v[1:2], null, s26, v5, v[1:2]
	v_mul_lo_u32 v4, s24, v4
	v_mul_lo_u32 v10, s25, v5
	v_mad_co_u64_u32 v[8:9], null, s24, v5, v[8:9]
	s_delay_alu instid0(VALU_DEP_4) | instskip(NEXT) | instid1(VALU_DEP_2)
	v_add3_u32 v2, v7, v2, v6
	v_add3_u32 v9, v10, v9, v4
	s_wait_alu 0xfffe
	s_cbranch_vccnz .LBB0_9
; %bb.7:                                ;   in Loop: Header=BB0_2 Depth=1
	v_dual_mov_b32 v5, v12 :: v_dual_mov_b32 v6, v13
	s_branch .LBB0_2
.LBB0_8:
	v_dual_mov_b32 v9, v2 :: v_dual_mov_b32 v8, v1
	v_dual_mov_b32 v13, v6 :: v_dual_mov_b32 v12, v5
.LBB0_9:
	s_load_b64 s[0:1], s[0:1], 0x28
	v_mul_hi_u32 v3, 0x539782a, v0
	s_lshl_b64 s[10:11], s[10:11], 3
                                        ; implicit-def: $vgpr10
                                        ; implicit-def: $vgpr14
                                        ; implicit-def: $vgpr24
                                        ; implicit-def: $vgpr22
                                        ; implicit-def: $vgpr20
                                        ; implicit-def: $vgpr16
                                        ; implicit-def: $vgpr18
	s_wait_kmcnt 0x0
	v_cmp_gt_u64_e32 vcc_lo, s[0:1], v[12:13]
	v_cmp_le_u64_e64 s0, s[0:1], v[12:13]
	s_delay_alu instid0(VALU_DEP_1)
	s_and_saveexec_b32 s1, s0
	s_wait_alu 0xfffe
	s_xor_b32 s0, exec_lo, s1
; %bb.10:
	v_mul_u32_u24_e32 v1, 49, v3
                                        ; implicit-def: $vgpr3
	s_delay_alu instid0(VALU_DEP_1) | instskip(SKIP_1) | instid1(VALU_DEP_1)
	v_sub_nc_u32_e32 v10, v0, v1
	v_mov_b32_e32 v11, 0
                                        ; implicit-def: $vgpr0
                                        ; implicit-def: $vgpr1_vgpr2
	v_dual_mov_b32 v15, v11 :: v_dual_add_nc_u32 v14, 49, v10
	v_dual_mov_b32 v25, v11 :: v_dual_add_nc_u32 v24, 0x62, v10
	v_add_nc_u32_e32 v22, 0xc4, v10
	v_dual_mov_b32 v17, v11 :: v_dual_add_nc_u32 v20, 0x126, v10
	v_dual_mov_b32 v23, v11 :: v_dual_add_nc_u32 v16, 0x93, v10
	;; [unrolled: 1-line block ×3, first 2 shown]
	v_mov_b32_e32 v21, v11
; %bb.11:
	s_wait_alu 0xfffe
	s_or_saveexec_b32 s1, s0
	s_add_nc_u64 s[2:3], s[14:15], s[10:11]
	s_wait_alu 0xfffe
	s_xor_b32 exec_lo, exec_lo, s1
	s_cbranch_execz .LBB0_13
; %bb.12:
	s_add_nc_u64 s[10:11], s[12:13], s[10:11]
	v_lshlrev_b64_e32 v[1:2], 4, v[1:2]
	s_load_b64 s[10:11], s[10:11], 0x0
	v_mov_b32_e32 v11, 0
	s_wait_kmcnt 0x0
	v_mul_lo_u32 v6, s11, v12
	v_mul_lo_u32 v7, s10, v13
	v_mad_co_u64_u32 v[4:5], null, s10, v12, 0
	s_delay_alu instid0(VALU_DEP_1) | instskip(SKIP_1) | instid1(VALU_DEP_2)
	v_add3_u32 v5, v5, v7, v6
	v_mul_u32_u24_e32 v6, 49, v3
	v_lshlrev_b64_e32 v[3:4], 4, v[4:5]
	s_delay_alu instid0(VALU_DEP_2) | instskip(SKIP_3) | instid1(VALU_DEP_4)
	v_sub_nc_u32_e32 v10, v0, v6
	v_mov_b32_e32 v25, v11
	v_mov_b32_e32 v23, v11
	;; [unrolled: 1-line block ×3, first 2 shown]
	v_dual_mov_b32 v21, v11 :: v_dual_add_nc_u32 v18, 0xf5, v10
	v_add_co_u32 v0, s0, s4, v3
	s_wait_alu 0xf1ff
	v_add_co_ci_u32_e64 v3, s0, s5, v4, s0
	v_lshlrev_b32_e32 v16, 4, v10
	s_delay_alu instid0(VALU_DEP_3) | instskip(SKIP_1) | instid1(VALU_DEP_3)
	v_add_co_u32 v0, s0, v0, v1
	s_wait_alu 0xf1ff
	v_add_co_ci_u32_e64 v1, s0, v3, v2, s0
	s_delay_alu instid0(VALU_DEP_3) | instskip(NEXT) | instid1(VALU_DEP_3)
	v_dual_mov_b32 v17, v11 :: v_dual_add_nc_u32 v74, 0, v16
	v_add_co_u32 v14, s0, v0, v16
	s_wait_alu 0xf1ff
	s_delay_alu instid0(VALU_DEP_3)
	v_add_co_ci_u32_e64 v15, s0, 0, v1, s0
	s_clause 0xd
	global_load_b128 v[0:3], v[14:15], off
	global_load_b128 v[4:7], v[14:15], off offset:784
	global_load_b128 v[26:29], v[14:15], off offset:1568
	;; [unrolled: 1-line block ×13, first 2 shown]
	v_dual_mov_b32 v15, v11 :: v_dual_add_nc_u32 v14, 49, v10
	v_add_nc_u32_e32 v24, 0x62, v10
	v_add_nc_u32_e32 v16, 0x93, v10
	v_add_nc_u32_e32 v22, 0xc4, v10
	v_add_nc_u32_e32 v20, 0x126, v10
	s_wait_loadcnt 0xd
	ds_store_b128 v74, v[0:3]
	s_wait_loadcnt 0xc
	ds_store_b128 v74, v[4:7] offset:784
	s_wait_loadcnt 0xb
	ds_store_b128 v74, v[26:29] offset:1568
	;; [unrolled: 2-line block ×13, first 2 shown]
.LBB0_13:
	s_or_b32 exec_lo, exec_lo, s1
	v_lshlrev_b32_e32 v32, 4, v10
	s_load_b64 s[2:3], s[2:3], 0x0
	global_wb scope:SCOPE_SE
	s_wait_dscnt 0x0
	s_wait_kmcnt 0x0
	s_barrier_signal -1
	s_barrier_wait -1
	v_add_nc_u32_e32 v31, 0, v32
	global_inv scope:SCOPE_SE
	s_mov_b32 s14, 0x37e14327
	s_mov_b32 s4, 0x36b3c0b5
	;; [unrolled: 1-line block ×3, first 2 shown]
	ds_load_b128 v[0:3], v31 offset:9408
	ds_load_b128 v[4:7], v31 offset:1568
	;; [unrolled: 1-line block ×12, first 2 shown]
	s_mov_b32 s15, 0x3fe948f6
	s_mov_b32 s5, 0x3fac98ee
	;; [unrolled: 1-line block ×11, first 2 shown]
	s_wait_dscnt 0xa
	v_add_f64_e32 v[69:70], v[4:5], v[0:1]
	v_add_f64_e32 v[71:72], v[6:7], v[2:3]
	s_wait_dscnt 0x8
	v_add_f64_e32 v[73:74], v[26:27], v[33:34]
	v_add_f64_e32 v[75:76], v[28:29], v[35:36]
	;; [unrolled: 3-line block ×4, first 2 shown]
	s_wait_dscnt 0x2
	v_add_f64_e32 v[85:86], v[57:58], v[53:54]
	v_add_f64_e64 v[26:27], v[26:27], -v[33:34]
	v_add_f64_e64 v[28:29], v[28:29], -v[35:36]
	v_add_f64_e32 v[33:34], v[59:60], v[55:56]
	v_add_f64_e64 v[35:36], v[53:54], -v[57:58]
	v_add_f64_e64 v[53:54], v[4:5], -v[0:1]
	;; [unrolled: 1-line block ×5, first 2 shown]
	s_wait_dscnt 0x0
	v_add_f64_e64 v[57:58], v[65:66], -v[61:62]
	v_add_f64_e64 v[47:48], v[47:48], -v[51:52]
	;; [unrolled: 1-line block ×5, first 2 shown]
	v_add_f64_e32 v[4:5], v[61:62], v[65:66]
	v_add_f64_e32 v[6:7], v[63:64], v[67:68]
	s_mov_b32 s23, 0xbff2aaaa
	s_wait_alu 0xfffe
	s_mov_b32 s0, s10
	s_mov_b32 s21, 0xbfd5d0dc
	;; [unrolled: 1-line block ×5, first 2 shown]
	v_and_b32_e32 v30, 0xff, v10
	v_sub_nc_u32_e32 v32, 0, v32
	s_delay_alu instid0(VALU_DEP_2) | instskip(NEXT) | instid1(VALU_DEP_1)
	v_mul_lo_u16 v30, v30, 37
	v_lshrrev_b16 v30, 8, v30
	v_add_f64_e32 v[0:1], v[73:74], v[69:70]
	v_add_f64_e32 v[2:3], v[75:76], v[71:72]
	;; [unrolled: 1-line block ×4, first 2 shown]
	v_add_f64_e64 v[59:60], v[69:70], -v[85:86]
	v_add_f64_e64 v[61:62], v[85:86], -v[73:74]
	;; [unrolled: 1-line block ×7, first 2 shown]
	v_add_f64_e32 v[26:27], v[35:36], v[26:27]
	v_add_f64_e64 v[89:90], v[28:29], -v[49:50]
	v_add_f64_e64 v[93:94], v[57:58], -v[45:46]
	v_add_f64_e32 v[28:29], v[55:56], v[28:29]
	v_add_f64_e64 v[95:96], v[45:46], -v[37:38]
	v_add_f64_e64 v[97:98], v[41:42], -v[47:48]
	;; [unrolled: 1-line block ×7, first 2 shown]
	v_add_f64_e32 v[45:46], v[57:58], v[45:46]
	v_add_f64_e32 v[47:48], v[41:42], v[47:48]
	v_add_f64_e64 v[35:36], v[53:54], -v[35:36]
	v_add_f64_e64 v[55:56], v[49:50], -v[55:56]
	;; [unrolled: 1-line block ×7, first 2 shown]
	v_add_f64_e32 v[85:86], v[85:86], v[0:1]
	v_add_f64_e32 v[91:92], v[33:34], v[2:3]
	v_add_f64_e64 v[33:34], v[33:34], -v[75:76]
	v_add_f64_e32 v[43:44], v[4:5], v[43:44]
	v_add_f64_e32 v[51:52], v[6:7], v[51:52]
	ds_load_b128 v[0:3], v31
	ds_load_b128 v[4:7], v31 offset:784
	v_mul_f64_e32 v[59:60], s[14:15], v[59:60]
	v_mul_f64_e32 v[73:74], s[4:5], v[61:62]
	;; [unrolled: 1-line block ×8, first 2 shown]
	v_add_f64_e32 v[26:27], v[26:27], v[53:54]
	v_mul_f64_e32 v[113:114], s[12:13], v[95:96]
	v_mul_f64_e32 v[97:98], s[16:17], v[97:98]
	;; [unrolled: 1-line block ×7, first 2 shown]
	v_add_f64_e32 v[28:29], v[28:29], v[49:50]
	v_add_f64_e32 v[37:38], v[45:46], v[37:38]
	;; [unrolled: 1-line block ×3, first 2 shown]
	global_wb scope:SCOPE_SE
	s_wait_dscnt 0x0
	s_barrier_signal -1
	s_barrier_wait -1
	global_inv scope:SCOPE_SE
	v_add_f64_e32 v[0:1], v[0:1], v[85:86]
	v_add_f64_e32 v[2:3], v[2:3], v[91:92]
	v_mul_f64_e32 v[111:112], s[4:5], v[33:34]
	v_add_f64_e32 v[4:5], v[4:5], v[43:44]
	v_add_f64_e32 v[6:7], v[6:7], v[51:52]
	v_fma_f64 v[45:46], v[61:62], s[4:5], v[59:60]
	v_fma_f64 v[47:48], v[69:70], s[10:11], -v[73:74]
	s_wait_alu 0xfffe
	v_fma_f64 v[49:50], v[69:70], s[0:1], -v[59:60]
	v_fma_f64 v[33:34], v[33:34], s[4:5], v[63:64]
	v_fma_f64 v[53:54], v[35:36], s[18:19], v[65:66]
	v_fma_f64 v[59:60], v[67:68], s[12:13], -v[65:66]
	v_fma_f64 v[61:62], v[55:56], s[18:19], v[87:88]
	v_fma_f64 v[35:36], v[35:36], s[20:21], -v[75:76]
	v_fma_f64 v[65:66], v[89:90], s[12:13], -v[87:88]
	;; [unrolled: 1-line block ×4, first 2 shown]
	v_fma_f64 v[75:76], v[57:58], s[18:19], v[93:94]
	v_fma_f64 v[89:90], v[105:106], s[4:5], v[101:102]
	v_fma_f64 v[57:58], v[57:58], s[20:21], -v[113:114]
	v_fma_f64 v[87:88], v[99:100], s[12:13], -v[97:98]
	v_fma_f64 v[67:68], v[85:86], s[22:23], v[0:1]
	v_fma_f64 v[69:70], v[91:92], s[22:23], v[2:3]
	v_fma_f64 v[73:74], v[71:72], s[10:11], -v[111:112]
	v_fma_f64 v[85:86], v[41:42], s[18:19], v[97:98]
	v_fma_f64 v[91:92], v[107:108], s[4:5], v[103:104]
	;; [unrolled: 1-line block ×4, first 2 shown]
	v_fma_f64 v[71:72], v[95:96], s[12:13], -v[93:94]
	v_fma_f64 v[41:42], v[41:42], s[20:21], -v[115:116]
	;; [unrolled: 1-line block ×6, first 2 shown]
	v_fma_f64 v[81:82], v[26:27], s[24:25], v[53:54]
	v_fma_f64 v[61:62], v[28:29], s[24:25], v[61:62]
	;; [unrolled: 1-line block ×7, first 2 shown]
	v_sub_nc_u16 v101, v10, v30
	v_mad_i32_i24 v35, 0x70, v14, 0
	s_delay_alu instid0(VALU_DEP_2) | instskip(NEXT) | instid1(VALU_DEP_1)
	v_lshrrev_b16 v26, 1, v101
	v_and_b32_e32 v26, 0x7f, v26
	s_delay_alu instid0(VALU_DEP_1)
	v_add_nc_u16 v26, v26, v30
	v_add_f64_e32 v[83:84], v[45:46], v[67:68]
	v_add_f64_e32 v[33:34], v[33:34], v[69:70]
	;; [unrolled: 1-line block ×6, first 2 shown]
	v_fma_f64 v[85:86], v[39:40], s[24:25], v[85:86]
	v_add_f64_e32 v[89:90], v[89:90], v[43:44]
	v_add_f64_e32 v[91:92], v[91:92], v[51:52]
	v_fma_f64 v[74:75], v[37:38], s[24:25], v[71:72]
	v_fma_f64 v[72:73], v[39:40], s[24:25], v[87:88]
	;; [unrolled: 1-line block ×4, first 2 shown]
	v_add_f64_e32 v[93:94], v[93:94], v[43:44]
	v_add_f64_e32 v[95:96], v[95:96], v[51:52]
	;; [unrolled: 1-line block ×4, first 2 shown]
	v_lshrrev_b16 v27, 2, v26
	s_delay_alu instid0(VALU_DEP_1) | instskip(NEXT) | instid1(VALU_DEP_1)
	v_mul_lo_u16 v26, v27, 7
	v_sub_nc_u16 v26, v10, v26
	s_delay_alu instid0(VALU_DEP_1) | instskip(NEXT) | instid1(VALU_DEP_1)
	v_and_b32_e32 v26, 0xff, v26
	v_mul_u32_u24_e32 v30, 6, v26
	v_add_f64_e32 v[36:37], v[83:84], v[61:62]
	v_add_f64_e64 v[38:39], v[33:34], -v[81:82]
	v_add_f64_e32 v[40:41], v[55:56], v[28:29]
	v_add_f64_e64 v[42:43], v[63:64], -v[59:60]
	v_add_f64_e64 v[44:45], v[48:49], -v[65:66]
	v_add_f64_e32 v[46:47], v[53:54], v[67:68]
	v_add_f64_e32 v[48:49], v[48:49], v[65:66]
	v_add_f64_e64 v[50:51], v[67:68], -v[53:54]
	v_add_f64_e64 v[52:53], v[55:56], -v[28:29]
	v_add_f64_e32 v[54:55], v[59:60], v[63:64]
	v_add_f64_e64 v[56:57], v[83:84], -v[61:62]
	v_add_f64_e32 v[58:59], v[81:82], v[33:34]
	v_add_f64_e32 v[60:61], v[89:90], v[85:86]
	v_add_f64_e64 v[62:63], v[91:92], -v[97:98]
	v_add_f64_e32 v[64:65], v[93:94], v[99:100]
	v_add_f64_e64 v[66:67], v[95:96], -v[87:88]
	v_add_f64_e64 v[68:69], v[76:77], -v[72:73]
	v_add_f64_e32 v[70:71], v[74:75], v[78:79]
	v_add_f64_e32 v[72:73], v[76:77], v[72:73]
	v_add_f64_e64 v[74:75], v[78:79], -v[74:75]
	v_add_f64_e64 v[76:77], v[93:94], -v[99:100]
	v_add_f64_e32 v[78:79], v[87:88], v[95:96]
	v_add_f64_e64 v[80:81], v[89:90], -v[85:86]
	v_add_f64_e32 v[82:83], v[97:98], v[91:92]
	v_and_b32_e32 v28, 0xff, v14
	v_mad_u32_u24 v29, 0x60, v10, v31
	v_lshlrev_b32_e32 v30, 4, v30
	v_lshl_add_u32 v34, v20, 4, 0
	v_lshlrev_b32_e32 v26, 4, v26
	v_mul_lo_u16 v28, v28, 37
	ds_store_b128 v29, v[0:3]
	ds_store_b128 v29, v[36:39] offset:16
	ds_store_b128 v29, v[40:43] offset:32
	;; [unrolled: 1-line block ×6, first 2 shown]
	ds_store_b128 v35, v[4:7]
	ds_store_b128 v35, v[60:63] offset:16
	ds_store_b128 v35, v[64:67] offset:32
	;; [unrolled: 1-line block ×6, first 2 shown]
	v_lshrrev_b16 v28, 8, v28
	global_wb scope:SCOPE_SE
	s_wait_dscnt 0x0
	s_barrier_signal -1
	s_barrier_wait -1
	global_inv scope:SCOPE_SE
	v_sub_nc_u16 v33, v14, v28
	s_clause 0x3
	global_load_b128 v[3:6], v30, s[8:9]
	global_load_b128 v[37:40], v30, s[8:9] offset:16
	global_load_b128 v[41:44], v30, s[8:9] offset:64
	;; [unrolled: 1-line block ×3, first 2 shown]
	v_lshrrev_b16 v0, 1, v33
	v_lshl_add_u32 v33, v22, 4, 0
	v_lshl_add_u32 v36, v24, 4, 0
	v_and_b32_e32 v7, 0xffff, v27
	v_mul_u32_u24_e32 v27, 6, v10
	v_and_b32_e32 v0, 0x7f, v0
	v_lshlrev_b64_e32 v[24:25], 4, v[24:25]
	s_delay_alu instid0(VALU_DEP_4) | instskip(NEXT) | instid1(VALU_DEP_3)
	v_mul_u32_u24_e32 v7, 0x310, v7
	v_add_nc_u16 v0, v0, v28
	s_delay_alu instid0(VALU_DEP_2) | instskip(NEXT) | instid1(VALU_DEP_2)
	v_add3_u32 v7, 0, v7, v26
	v_lshrrev_b16 v2, 2, v0
	s_delay_alu instid0(VALU_DEP_1) | instskip(SKIP_1) | instid1(VALU_DEP_2)
	v_mul_lo_u16 v0, v2, 7
	v_and_b32_e32 v2, 0xffff, v2
	v_sub_nc_u16 v0, v14, v0
	s_delay_alu instid0(VALU_DEP_2) | instskip(NEXT) | instid1(VALU_DEP_2)
	v_mul_u32_u24_e32 v2, 0x310, v2
	v_and_b32_e32 v1, 0xff, v0
	s_delay_alu instid0(VALU_DEP_1) | instskip(SKIP_1) | instid1(VALU_DEP_2)
	v_mul_u32_u24_e32 v0, 6, v1
	v_lshlrev_b32_e32 v1, 4, v1
	v_lshlrev_b32_e32 v0, 4, v0
	s_clause 0x7
	global_load_b128 v[49:52], v0, s[8:9]
	global_load_b128 v[53:56], v0, s[8:9] offset:16
	global_load_b128 v[57:60], v0, s[8:9] offset:64
	;; [unrolled: 1-line block ×7, first 2 shown]
	ds_load_b128 v[85:88], v33
	ds_load_b128 v[89:92], v31 offset:7840
	ds_load_b128 v[81:84], v36
	ds_load_b128 v[93:96], v31 offset:9408
	ds_load_b128 v[97:100], v31 offset:8624
	;; [unrolled: 1-line block ×4, first 2 shown]
	v_mad_i32_i24 v0, 0xffffffa0, v14, v35
	v_lshlrev_b32_e32 v30, 4, v27
	v_add3_u32 v1, 0, v2, v1
	s_wait_loadcnt_dscnt 0xb04
	v_mul_f64_e32 v[28:29], v[83:84], v[5:6]
	s_wait_loadcnt 0xa
	v_mul_f64_e32 v[109:110], v[87:88], v[39:40]
	v_mul_f64_e32 v[5:6], v[81:82], v[5:6]
	s_wait_loadcnt 0x9
	v_mul_f64_e32 v[111:112], v[91:92], v[43:44]
	s_wait_loadcnt_dscnt 0x803
	v_mul_f64_e32 v[113:114], v[95:96], v[47:48]
	v_mul_f64_e32 v[39:40], v[85:86], v[39:40]
	;; [unrolled: 1-line block ×4, first 2 shown]
	v_fma_f64 v[28:29], v[81:82], v[3:4], -v[28:29]
	v_fma_f64 v[85:86], v[85:86], v[37:38], -v[109:110]
	v_fma_f64 v[115:116], v[83:84], v[3:4], v[5:6]
	ds_load_b128 v[3:6], v31 offset:3920
	ds_load_b128 v[81:84], v31
	s_wait_loadcnt_dscnt 0x703
	v_mul_f64_e32 v[109:110], v[103:104], v[51:52]
	v_mul_f64_e32 v[51:52], v[101:102], v[51:52]
	v_fma_f64 v[89:90], v[89:90], v[41:42], -v[111:112]
	s_wait_loadcnt 0x5
	v_mul_f64_e32 v[117:118], v[99:100], v[59:60]
	v_mul_f64_e32 v[59:60], v[97:98], v[59:60]
	v_fma_f64 v[93:94], v[93:94], v[45:46], -v[113:114]
	s_wait_loadcnt_dscnt 0x402
	v_mul_f64_e32 v[113:114], v[107:108], v[63:64]
	v_mul_f64_e32 v[63:64], v[105:106], v[63:64]
	v_fma_f64 v[87:88], v[87:88], v[37:38], v[39:40]
	ds_load_b128 v[37:40], v31 offset:5488
	v_fma_f64 v[91:92], v[91:92], v[41:42], v[43:44]
	ds_load_b128 v[41:44], v34
	v_fma_f64 v[95:96], v[95:96], v[45:46], v[47:48]
	s_wait_dscnt 0x3
	v_mul_f64_e32 v[111:112], v[5:6], v[55:56]
	v_mul_f64_e32 v[55:56], v[3:4], v[55:56]
	v_fma_f64 v[101:102], v[101:102], v[49:50], -v[109:110]
	v_fma_f64 v[103:104], v[103:104], v[49:50], v[51:52]
	ds_load_b128 v[45:48], v31 offset:6272
	ds_load_b128 v[49:52], v31 offset:7056
	v_fma_f64 v[97:98], v[97:98], v[57:58], -v[117:118]
	v_fma_f64 v[57:58], v[99:100], v[57:58], v[59:60]
	s_wait_loadcnt_dscnt 0x302
	v_mul_f64_e32 v[59:60], v[41:42], v[67:68]
	s_wait_loadcnt 0x1
	v_mul_f64_e32 v[99:100], v[39:40], v[75:76]
	v_fma_f64 v[105:106], v[105:106], v[61:62], -v[113:114]
	v_fma_f64 v[61:62], v[107:108], v[61:62], v[63:64]
	v_mul_f64_e32 v[75:76], v[37:38], v[75:76]
	v_fma_f64 v[109:110], v[3:4], v[53:54], -v[111:112]
	v_fma_f64 v[53:54], v[5:6], v[53:54], v[55:56]
	v_mul_f64_e32 v[55:56], v[43:44], v[67:68]
	s_wait_dscnt 0x1
	v_mul_f64_e32 v[67:68], v[47:48], v[71:72]
	v_mul_f64_e32 v[71:72], v[45:46], v[71:72]
	s_wait_loadcnt_dscnt 0x0
	v_mul_f64_e32 v[63:64], v[51:52], v[79:80]
	v_mul_f64_e32 v[79:80], v[49:50], v[79:80]
	ds_load_b128 v[3:6], v0
	global_wb scope:SCOPE_SE
	s_wait_dscnt 0x0
	s_barrier_signal -1
	s_barrier_wait -1
	global_inv scope:SCOPE_SE
	v_fma_f64 v[43:44], v[43:44], v[65:66], v[59:60]
	v_fma_f64 v[37:38], v[37:38], v[73:74], -v[99:100]
	v_add_f64_e32 v[59:60], v[85:86], v[89:90]
	v_add_f64_e64 v[85:86], v[85:86], -v[89:90]
	v_fma_f64 v[39:40], v[39:40], v[73:74], v[75:76]
	v_add_f64_e32 v[73:74], v[53:54], v[57:58]
	v_fma_f64 v[41:42], v[41:42], v[65:66], -v[55:56]
	v_fma_f64 v[45:46], v[45:46], v[69:70], -v[67:68]
	v_fma_f64 v[47:48], v[47:48], v[69:70], v[71:72]
	v_fma_f64 v[49:50], v[49:50], v[77:78], -v[63:64]
	v_add_f64_e32 v[55:56], v[28:29], v[93:94]
	v_add_f64_e32 v[63:64], v[115:116], v[95:96]
	;; [unrolled: 1-line block ×3, first 2 shown]
	v_fma_f64 v[51:52], v[51:52], v[77:78], v[79:80]
	v_add_f64_e32 v[67:68], v[101:102], v[105:106]
	v_add_f64_e32 v[69:70], v[109:110], v[97:98]
	;; [unrolled: 1-line block ×3, first 2 shown]
	v_add_f64_e64 v[28:29], v[28:29], -v[93:94]
	v_add_f64_e64 v[93:94], v[101:102], -v[105:106]
	;; [unrolled: 1-line block ×4, first 2 shown]
	v_add_f64_e32 v[75:76], v[41:42], v[45:46]
	v_add_f64_e32 v[77:78], v[43:44], v[47:48]
	;; [unrolled: 1-line block ×3, first 2 shown]
	v_add_f64_e64 v[41:42], v[45:46], -v[41:42]
	v_add_f64_e64 v[45:46], v[87:88], -v[91:92]
	;; [unrolled: 1-line block ×3, first 2 shown]
	v_add_f64_e32 v[47:48], v[59:60], v[55:56]
	v_add_f64_e32 v[87:88], v[65:66], v[63:64]
	v_add_f64_e64 v[91:92], v[115:116], -v[95:96]
	v_add_f64_e64 v[95:96], v[109:110], -v[97:98]
	;; [unrolled: 1-line block ×3, first 2 shown]
	v_add_f64_e32 v[89:90], v[39:40], v[51:52]
	v_add_f64_e32 v[49:50], v[69:70], v[67:68]
	;; [unrolled: 1-line block ×3, first 2 shown]
	v_add_f64_e64 v[51:52], v[51:52], -v[39:40]
	v_add_f64_e64 v[117:118], v[53:54], -v[57:58]
	;; [unrolled: 1-line block ×6, first 2 shown]
	v_add_f64_e32 v[103:104], v[41:42], v[85:86]
	v_add_f64_e64 v[85:86], v[85:86], -v[28:29]
	v_add_f64_e64 v[105:106], v[43:44], -v[45:46]
	v_add_f64_e32 v[47:48], v[75:76], v[47:48]
	v_add_f64_e32 v[75:76], v[77:78], v[87:88]
	;; [unrolled: 1-line block ×3, first 2 shown]
	v_add_f64_e64 v[45:46], v[45:46], -v[91:92]
	v_add_f64_e64 v[77:78], v[63:64], -v[77:78]
	;; [unrolled: 1-line block ×4, first 2 shown]
	v_add_f64_e32 v[49:50], v[79:80], v[49:50]
	v_add_f64_e32 v[97:98], v[89:90], v[97:98]
	v_add_f64_e64 v[111:112], v[95:96], -v[93:94]
	v_add_f64_e64 v[113:114], v[51:52], -v[53:54]
	;; [unrolled: 1-line block ×3, first 2 shown]
	v_add_f64_e32 v[95:96], v[37:38], v[95:96]
	v_add_f64_e64 v[79:80], v[67:68], -v[79:80]
	v_add_f64_e64 v[89:90], v[71:72], -v[89:90]
	;; [unrolled: 1-line block ×8, first 2 shown]
	v_add_f64_e32 v[53:54], v[51:52], v[53:54]
	v_add_f64_e64 v[71:72], v[93:94], -v[37:38]
	v_add_f64_e64 v[51:52], v[57:58], -v[51:52]
	v_mul_f64_e32 v[67:68], s[14:15], v[39:40]
	v_mul_f64_e32 v[69:70], s[4:5], v[61:62]
	;; [unrolled: 1-line block ×4, first 2 shown]
	v_add_f64_e32 v[28:29], v[103:104], v[28:29]
	v_mul_f64_e32 v[103:104], s[12:13], v[85:86]
	v_mul_f64_e32 v[105:106], s[16:17], v[105:106]
	v_add_f64_e32 v[37:38], v[81:82], v[47:48]
	v_add_f64_e32 v[39:40], v[83:84], v[75:76]
	;; [unrolled: 1-line block ×3, first 2 shown]
	v_mul_f64_e32 v[83:84], s[12:13], v[45:46]
	v_mul_f64_e32 v[77:78], s[14:15], v[77:78]
	;; [unrolled: 1-line block ×4, first 2 shown]
	v_add_f64_e32 v[3:4], v[3:4], v[49:50]
	v_add_f64_e32 v[5:6], v[5:6], v[97:98]
	v_mul_f64_e32 v[109:110], s[12:13], v[111:112]
	v_mul_f64_e32 v[113:114], s[16:17], v[113:114]
	;; [unrolled: 1-line block ×3, first 2 shown]
	v_add_f64_e32 v[93:94], v[95:96], v[93:94]
	v_mul_f64_e32 v[95:96], s[12:13], v[117:118]
	v_mul_f64_e32 v[79:80], s[14:15], v[79:80]
	;; [unrolled: 1-line block ×3, first 2 shown]
	v_add_f64_e32 v[53:54], v[53:54], v[57:58]
	v_fma_f64 v[57:58], v[61:62], s[4:5], v[67:68]
	v_fma_f64 v[61:62], v[55:56], s[10:11], -v[69:70]
	v_fma_f64 v[55:56], v[55:56], s[0:1], -v[67:68]
	v_fma_f64 v[67:68], v[59:60], s[10:11], -v[73:74]
	v_fma_f64 v[69:70], v[41:42], s[18:19], v[101:102]
	v_fma_f64 v[73:74], v[85:86], s[12:13], -v[101:102]
	v_fma_f64 v[41:42], v[41:42], s[20:21], -v[103:104]
	;; [unrolled: 1-line block ×3, first 2 shown]
	v_fma_f64 v[47:48], v[47:48], s[22:23], v[37:38]
	v_fma_f64 v[75:76], v[75:76], s[22:23], v[39:40]
	;; [unrolled: 1-line block ×3, first 2 shown]
	v_fma_f64 v[43:44], v[43:44], s[20:21], -v[83:84]
	v_fma_f64 v[83:84], v[99:100], s[4:5], v[77:78]
	v_fma_f64 v[59:60], v[59:60], s[0:1], -v[77:78]
	v_fma_f64 v[77:78], v[71:72], s[18:19], v[91:92]
	v_fma_f64 v[91:92], v[111:112], s[12:13], -v[91:92]
	v_fma_f64 v[87:88], v[63:64], s[10:11], -v[87:88]
	v_fma_f64 v[71:72], v[71:72], s[20:21], -v[109:110]
	v_fma_f64 v[99:100], v[117:118], s[12:13], -v[113:114]
	v_fma_f64 v[101:102], v[65:66], s[10:11], -v[119:120]
	v_fma_f64 v[49:50], v[49:50], s[22:23], v[3:4]
	v_fma_f64 v[97:98], v[97:98], s[22:23], v[5:6]
	;; [unrolled: 1-line block ×3, first 2 shown]
	v_fma_f64 v[51:52], v[51:52], s[20:21], -v[95:96]
	v_fma_f64 v[63:64], v[63:64], s[0:1], -v[79:80]
	v_fma_f64 v[79:80], v[107:108], s[4:5], v[79:80]
	v_fma_f64 v[95:96], v[115:116], s[4:5], v[89:90]
	v_fma_f64 v[65:66], v[65:66], s[0:1], -v[89:90]
	v_fma_f64 v[69:70], v[28:29], s[24:25], v[69:70]
	v_fma_f64 v[73:74], v[28:29], s[24:25], v[73:74]
	v_fma_f64 v[28:29], v[28:29], s[24:25], v[41:42]
	v_fma_f64 v[45:46], v[81:82], s[24:25], v[45:46]
	v_add_f64_e32 v[55:56], v[55:56], v[47:48]
	v_add_f64_e32 v[67:68], v[67:68], v[75:76]
	v_fma_f64 v[85:86], v[81:82], s[24:25], v[85:86]
	v_fma_f64 v[81:82], v[81:82], s[24:25], v[43:44]
	v_add_f64_e32 v[61:62], v[61:62], v[47:48]
	v_add_f64_e32 v[59:60], v[59:60], v[75:76]
	v_fma_f64 v[89:90], v[93:94], s[24:25], v[77:78]
	v_fma_f64 v[77:78], v[93:94], s[24:25], v[91:92]
	;; [unrolled: 4-line block ×4, first 2 shown]
	v_add_f64_e32 v[103:104], v[63:64], v[49:50]
	v_add_f64_e32 v[105:106], v[79:80], v[49:50]
	;; [unrolled: 1-line block ×5, first 2 shown]
	v_add_f64_e64 v[47:48], v[67:68], -v[73:74]
	v_add_f64_e32 v[49:50], v[81:82], v[55:56]
	v_add_f64_e64 v[53:54], v[55:56], -v[81:82]
	v_add_f64_e64 v[51:52], v[59:60], -v[28:29]
	v_add_f64_e32 v[55:56], v[28:29], v[59:60]
	v_add_f64_e64 v[41:42], v[61:62], -v[45:46]
	v_add_f64_e32 v[57:58], v[85:86], v[91:92]
	;; [unrolled: 2-line block ×5, first 2 shown]
	v_add_f64_e32 v[69:70], v[71:72], v[87:88]
	v_add_f64_e64 v[71:72], v[93:94], -v[77:78]
	v_add_f64_e32 v[77:78], v[99:100], v[105:106]
	v_add_f64_e64 v[79:80], v[95:96], -v[89:90]
	;; [unrolled: 2-line block ×3, first 2 shown]
	v_add_f64_e64 v[81:82], v[103:104], -v[101:102]
	v_add_f64_e32 v[83:84], v[83:84], v[97:98]
	v_add_f64_e64 v[85:86], v[105:106], -v[99:100]
	v_add_f64_e32 v[87:88], v[89:90], v[95:96]
	ds_store_b128 v7, v[37:40]
	ds_store_b128 v7, v[57:60] offset:112
	ds_store_b128 v7, v[49:52] offset:224
	;; [unrolled: 1-line block ×6, first 2 shown]
	ds_store_b128 v1, v[3:6]
	ds_store_b128 v1, v[77:80] offset:112
	ds_store_b128 v1, v[73:76] offset:224
	;; [unrolled: 1-line block ×6, first 2 shown]
	global_wb scope:SCOPE_SE
	s_wait_dscnt 0x0
	s_barrier_signal -1
	s_barrier_wait -1
	global_inv scope:SCOPE_SE
	s_clause 0x5
	global_load_b128 v[1:4], v30, s[8:9] offset:672
	global_load_b128 v[26:29], v30, s[8:9] offset:688
	;; [unrolled: 1-line block ×6, first 2 shown]
	ds_load_b128 v[53:56], v36
	ds_load_b128 v[57:60], v31 offset:2352
	ds_load_b128 v[61:64], v33
	ds_load_b128 v[65:68], v31 offset:3920
	ds_load_b128 v[69:72], v31
	s_wait_loadcnt_dscnt 0x504
	v_mul_f64_e32 v[89:90], v[55:56], v[3:4]
	v_mul_f64_e32 v[91:92], v[53:54], v[3:4]
	s_wait_dscnt 0x3
	v_mul_f64_e32 v[93:94], v[59:60], v[3:4]
	v_mul_f64_e32 v[95:96], v[57:58], v[3:4]
	s_wait_loadcnt_dscnt 0x402
	v_mul_f64_e32 v[97:98], v[63:64], v[28:29]
	v_mul_f64_e32 v[99:100], v[61:62], v[28:29]
	ds_load_b128 v[3:6], v31 offset:9408
	ds_load_b128 v[73:76], v31 offset:7840
	;; [unrolled: 1-line block ×5, first 2 shown]
	s_wait_dscnt 0x6
	v_mul_f64_e32 v[101:102], v[67:68], v[28:29]
	v_mul_f64_e32 v[28:29], v[65:66], v[28:29]
	s_wait_loadcnt_dscnt 0x304
	v_mul_f64_e32 v[103:104], v[5:6], v[39:40]
	v_mul_f64_e32 v[105:106], v[3:4], v[39:40]
	s_wait_loadcnt_dscnt 0x203
	v_mul_f64_e32 v[107:108], v[75:76], v[43:44]
	v_mul_f64_e32 v[109:110], v[73:74], v[43:44]
	s_wait_dscnt 0x2
	v_mul_f64_e32 v[111:112], v[79:80], v[39:40]
	v_mul_f64_e32 v[39:40], v[77:78], v[39:40]
	v_fma_f64 v[89:90], v[53:54], v[1:2], -v[89:90]
	v_fma_f64 v[91:92], v[55:56], v[1:2], v[91:92]
	v_fma_f64 v[93:94], v[57:58], v[1:2], -v[93:94]
	v_fma_f64 v[1:2], v[59:60], v[1:2], v[95:96]
	;; [unrolled: 2-line block ×3, first 2 shown]
	ds_load_b128 v[61:64], v31 offset:7056
	s_wait_dscnt 0x1
	v_mul_f64_e32 v[95:96], v[87:88], v[43:44]
	v_mul_f64_e32 v[43:44], v[85:86], v[43:44]
	ds_load_b128 v[53:56], v34
	ds_load_b128 v[57:60], v31 offset:6272
	v_fma_f64 v[65:66], v[65:66], v[26:27], -v[101:102]
	v_fma_f64 v[67:68], v[67:68], v[26:27], v[28:29]
	ds_load_b128 v[26:29], v0
	global_wb scope:SCOPE_SE
	s_wait_loadcnt_dscnt 0x0
	s_barrier_signal -1
	s_barrier_wait -1
	global_inv scope:SCOPE_SE
	v_fma_f64 v[3:4], v[3:4], v[37:38], -v[103:104]
	v_fma_f64 v[5:6], v[5:6], v[37:38], v[105:106]
	v_mul_f64_e32 v[103:104], v[83:84], v[47:48]
	v_fma_f64 v[73:74], v[73:74], v[41:42], -v[107:108]
	v_mul_f64_e32 v[101:102], v[55:56], v[47:48]
	v_mul_f64_e32 v[113:114], v[53:54], v[47:48]
	;; [unrolled: 1-line block ×4, first 2 shown]
	v_fma_f64 v[75:76], v[75:76], v[41:42], v[109:110]
	v_mul_f64_e32 v[47:48], v[81:82], v[47:48]
	v_mul_f64_e32 v[107:108], v[63:64], v[51:52]
	v_fma_f64 v[77:78], v[77:78], v[37:38], -v[111:112]
	v_fma_f64 v[37:38], v[79:80], v[37:38], v[39:40]
	v_mul_f64_e32 v[39:40], v[61:62], v[51:52]
	v_fma_f64 v[51:52], v[85:86], v[41:42], -v[95:96]
	v_fma_f64 v[41:42], v[87:88], v[41:42], v[43:44]
	v_add_f64_e32 v[79:80], v[91:92], v[5:6]
	v_add_f64_e64 v[91:92], v[91:92], -v[5:6]
	v_fma_f64 v[43:44], v[53:54], v[45:46], -v[101:102]
	v_fma_f64 v[55:56], v[55:56], v[45:46], v[113:114]
	v_fma_f64 v[53:54], v[57:58], v[49:50], -v[115:116]
	v_fma_f64 v[57:58], v[59:60], v[49:50], v[105:106]
	;; [unrolled: 2-line block ×3, first 2 shown]
	v_add_f64_e32 v[47:48], v[89:90], v[3:4]
	v_add_f64_e32 v[81:82], v[97:98], v[73:74]
	;; [unrolled: 1-line block ×3, first 2 shown]
	v_fma_f64 v[61:62], v[61:62], v[49:50], -v[107:108]
	v_fma_f64 v[39:40], v[63:64], v[49:50], v[39:40]
	v_add_f64_e32 v[49:50], v[93:94], v[77:78]
	v_add_f64_e32 v[85:86], v[1:2], v[37:38]
	v_add_f64_e64 v[73:74], v[97:98], -v[73:74]
	v_add_f64_e64 v[89:90], v[89:90], -v[3:4]
	;; [unrolled: 1-line block ×3, first 2 shown]
	v_add_f64_e32 v[63:64], v[65:66], v[51:52]
	v_add_f64_e32 v[87:88], v[67:68], v[41:42]
	v_add_f64_e64 v[3:4], v[65:66], -v[51:52]
	v_add_f64_e64 v[5:6], v[67:68], -v[41:42]
	v_add_f64_e32 v[95:96], v[43:44], v[53:54]
	v_add_f64_e32 v[101:102], v[55:56], v[57:58]
	v_add_f64_e64 v[43:44], v[53:54], -v[43:44]
	v_add_f64_e64 v[53:54], v[99:100], -v[75:76]
	v_add_f64_e64 v[55:56], v[57:58], -v[55:56]
	v_add_f64_e32 v[57:58], v[81:82], v[47:48]
	v_add_f64_e32 v[75:76], v[83:84], v[79:80]
	;; [unrolled: 1-line block ×4, first 2 shown]
	v_add_f64_e64 v[41:42], v[61:62], -v[59:60]
	v_add_f64_e64 v[39:40], v[39:40], -v[45:46]
	v_add_f64_e64 v[59:60], v[93:94], -v[77:78]
	v_add_f64_e32 v[45:46], v[63:64], v[49:50]
	v_add_f64_e32 v[51:52], v[87:88], v[85:86]
	v_add_f64_e64 v[113:114], v[5:6], -v[1:2]
	v_add_f64_e64 v[37:38], v[47:48], -v[95:96]
	;; [unrolled: 1-line block ×6, first 2 shown]
	v_add_f64_e32 v[57:58], v[95:96], v[57:58]
	v_add_f64_e32 v[75:76], v[101:102], v[75:76]
	v_add_f64_e64 v[93:94], v[101:102], -v[83:84]
	v_add_f64_e64 v[95:96], v[73:74], -v[89:90]
	;; [unrolled: 1-line block ×7, first 2 shown]
	v_add_f64_e32 v[45:46], v[97:98], v[45:46]
	v_add_f64_e32 v[51:52], v[99:100], v[51:52]
	;; [unrolled: 1-line block ×3, first 2 shown]
	v_add_f64_e64 v[97:98], v[97:98], -v[63:64]
	v_add_f64_e64 v[99:100], v[99:100], -v[87:88]
	;; [unrolled: 1-line block ×6, first 2 shown]
	v_add_f64_e32 v[53:54], v[55:56], v[53:54]
	v_add_f64_e32 v[63:64], v[41:42], v[3:4]
	;; [unrolled: 1-line block ×3, first 2 shown]
	v_add_f64_e64 v[43:44], v[89:90], -v[43:44]
	v_add_f64_e64 v[55:56], v[91:92], -v[55:56]
	;; [unrolled: 1-line block ×5, first 2 shown]
	v_mul_f64_e32 v[119:120], s[12:13], v[113:114]
	v_mul_f64_e32 v[37:38], s[14:15], v[37:38]
	;; [unrolled: 1-line block ×6, first 2 shown]
	v_add_f64_e32 v[4:5], v[69:70], v[57:58]
	v_add_f64_e32 v[6:7], v[71:72], v[75:76]
	v_mul_f64_e32 v[69:70], s[4:5], v[93:94]
	v_mul_f64_e32 v[71:72], s[12:13], v[95:96]
	;; [unrolled: 1-line block ×7, first 2 shown]
	v_add_f64_e32 v[26:27], v[26:27], v[45:46]
	v_add_f64_e32 v[28:29], v[28:29], v[51:52]
	;; [unrolled: 1-line block ×3, first 2 shown]
	v_mul_f64_e32 v[87:88], s[4:5], v[97:98]
	v_mul_f64_e32 v[89:90], s[4:5], v[99:100]
	;; [unrolled: 1-line block ×3, first 2 shown]
	v_add_f64_e32 v[53:54], v[53:54], v[91:92]
	v_add_f64_e32 v[59:60], v[63:64], v[59:60]
	;; [unrolled: 1-line block ×3, first 2 shown]
	v_fma_f64 v[61:62], v[61:62], s[4:5], v[37:38]
	v_fma_f64 v[63:64], v[47:48], s[10:11], -v[83:84]
	v_fma_f64 v[37:38], v[47:48], s[0:1], -v[37:38]
	v_fma_f64 v[47:48], v[93:94], s[4:5], v[65:66]
	v_fma_f64 v[81:82], v[43:44], s[18:19], v[67:68]
	;; [unrolled: 1-line block ×5, first 2 shown]
	v_fma_f64 v[77:78], v[101:102], s[12:13], -v[77:78]
	v_fma_f64 v[69:70], v[79:80], s[10:11], -v[69:70]
	;; [unrolled: 1-line block ×6, first 2 shown]
	v_fma_f64 v[71:72], v[97:98], s[4:5], v[103:104]
	v_fma_f64 v[79:80], v[99:100], s[4:5], v[105:106]
	;; [unrolled: 1-line block ×4, first 2 shown]
	v_fma_f64 v[95:96], v[111:112], s[12:13], -v[107:108]
	v_fma_f64 v[97:98], v[113:114], s[12:13], -v[109:110]
	v_fma_f64 v[45:46], v[45:46], s[22:23], v[26:27]
	v_fma_f64 v[51:52], v[51:52], s[22:23], v[28:29]
	v_fma_f64 v[87:88], v[49:50], s[10:11], -v[87:88]
	v_fma_f64 v[89:90], v[85:86], s[10:11], -v[89:90]
	;; [unrolled: 1-line block ×6, first 2 shown]
	v_fma_f64 v[81:82], v[73:74], s[24:25], v[81:82]
	v_fma_f64 v[83:84], v[53:54], s[24:25], v[83:84]
	v_add_f64_e32 v[61:62], v[61:62], v[57:58]
	v_add_f64_e32 v[99:100], v[47:48], v[75:76]
	v_fma_f64 v[77:78], v[53:54], s[24:25], v[77:78]
	v_add_f64_e32 v[47:48], v[63:64], v[57:58]
	v_add_f64_e32 v[63:64], v[69:70], v[75:76]
	v_fma_f64 v[69:70], v[73:74], s[24:25], v[43:44]
	v_fma_f64 v[53:54], v[53:54], s[24:25], v[55:56]
	v_add_f64_e32 v[55:56], v[37:38], v[57:58]
	v_add_f64_e32 v[57:58], v[65:66], v[75:76]
	v_fma_f64 v[67:68], v[73:74], s[24:25], v[67:68]
	v_fma_f64 v[91:92], v[59:60], s[24:25], v[91:92]
	;; [unrolled: 1-line block ×5, first 2 shown]
	v_add_f64_e32 v[95:96], v[71:72], v[45:46]
	v_add_f64_e32 v[97:98], v[79:80], v[51:52]
	;; [unrolled: 1-line block ×4, first 2 shown]
	v_fma_f64 v[87:88], v[59:60], s[24:25], v[41:42]
	v_fma_f64 v[1:2], v[1:2], s[24:25], v[39:40]
	v_add_f64_e32 v[89:90], v[49:50], v[45:46]
	v_add_f64_e32 v[85:86], v[85:86], v[51:52]
	;; [unrolled: 1-line block ×3, first 2 shown]
	v_add_f64_e64 v[39:40], v[99:100], -v[81:82]
	v_add_f64_e32 v[59:60], v[81:82], v[99:100]
	v_add_f64_e64 v[41:42], v[47:48], -v[77:78]
	v_add_f64_e32 v[45:46], v[77:78], v[47:48]
	v_add_f64_e32 v[49:50], v[53:54], v[55:56]
	v_add_f64_e64 v[51:52], v[57:58], -v[69:70]
	v_add_f64_e32 v[43:44], v[67:68], v[63:64]
	v_add_f64_e64 v[47:48], v[63:64], -v[67:68]
	v_add_f64_e64 v[53:54], v[55:56], -v[53:54]
	v_add_f64_e32 v[55:56], v[69:70], v[57:58]
	v_add_f64_e64 v[57:58], v[61:62], -v[83:84]
	v_add_f64_e32 v[61:62], v[93:94], v[95:96]
	v_add_f64_e64 v[63:64], v[97:98], -v[91:92]
	v_add_f64_e64 v[65:66], v[71:72], -v[75:76]
	v_add_f64_e32 v[67:68], v[73:74], v[79:80]
	v_add_f64_e32 v[69:70], v[75:76], v[71:72]
	v_add_f64_e64 v[71:72], v[79:80], -v[73:74]
	v_add_f64_e32 v[73:74], v[1:2], v[89:90]
	v_add_f64_e64 v[75:76], v[85:86], -v[87:88]
	v_add_f64_e64 v[77:78], v[89:90], -v[1:2]
	v_add_f64_e32 v[79:80], v[87:88], v[85:86]
	v_add_f64_e64 v[81:82], v[95:96], -v[93:94]
	v_add_f64_e32 v[83:84], v[91:92], v[97:98]
	v_lshlrev_b64_e32 v[2:3], 4, v[10:11]
	ds_store_b128 v31, v[4:7]
	ds_store_b128 v31, v[37:40] offset:784
	ds_store_b128 v31, v[49:52] offset:1568
	;; [unrolled: 1-line block ×13, first 2 shown]
	v_add_co_u32 v2, s0, s8, v2
	s_wait_alu 0xf1ff
	v_add_co_ci_u32_e64 v3, s0, s9, v3, s0
	global_wb scope:SCOPE_SE
	s_wait_dscnt 0x0
	s_barrier_signal -1
	s_barrier_wait -1
	global_inv scope:SCOPE_SE
	global_load_b128 v[4:7], v[2:3], off offset:5376
	v_lshlrev_b64_e32 v[85:86], 4, v[14:15]
	v_lshlrev_b64_e32 v[37:38], 4, v[16:17]
	;; [unrolled: 1-line block ×5, first 2 shown]
	v_lshl_add_u32 v11, v18, 4, 0
	v_add_co_u32 v29, s0, s8, v85
	s_wait_alu 0xf1ff
	v_add_co_ci_u32_e64 v30, s0, s9, v86, s0
	v_add_co_u32 v27, s0, s8, v24
	s_wait_alu 0xf1ff
	v_add_co_ci_u32_e64 v28, s0, s9, v25, s0
	;; [unrolled: 3-line block ×5, first 2 shown]
	s_clause 0x2
	global_load_b128 v[37:40], v[29:30], off offset:5376
	global_load_b128 v[41:44], v[27:28], off offset:5376
	;; [unrolled: 1-line block ×3, first 2 shown]
	v_add_co_u32 v19, s0, s8, v19
	s_wait_alu 0xf1ff
	v_add_co_ci_u32_e64 v20, s0, s9, v20, s0
	s_clause 0x2
	global_load_b128 v[49:52], v[23:24], off offset:5376
	global_load_b128 v[53:56], v[21:22], off offset:5376
	;; [unrolled: 1-line block ×3, first 2 shown]
	ds_load_b128 v[61:64], v31 offset:5488
	ds_load_b128 v[65:68], v31
	ds_load_b128 v[69:72], v31 offset:6272
	ds_load_b128 v[73:76], v31 offset:7056
	ds_load_b128 v[77:80], v31 offset:7840
	ds_load_b128 v[81:84], v31 offset:8624
	ds_load_b128 v[85:88], v31 offset:9408
	ds_load_b128 v[89:92], v31 offset:10192
	v_cmp_ne_u32_e64 s0, 0, v10
	s_wait_loadcnt_dscnt 0x607
	v_mul_f64_e32 v[93:94], v[63:64], v[6:7]
	v_mul_f64_e32 v[6:7], v[61:62], v[6:7]
	s_wait_loadcnt_dscnt 0x505
	v_mul_f64_e32 v[95:96], v[71:72], v[39:40]
	v_mul_f64_e32 v[39:40], v[69:70], v[39:40]
	;; [unrolled: 3-line block ×6, first 2 shown]
	s_wait_loadcnt_dscnt 0x0
	v_mul_f64_e32 v[105:106], v[91:92], v[59:60]
	v_fma_f64 v[61:62], v[61:62], v[4:5], -v[93:94]
	v_fma_f64 v[63:64], v[63:64], v[4:5], v[6:7]
	v_mul_f64_e32 v[4:5], v[89:90], v[59:60]
	v_fma_f64 v[59:60], v[69:70], v[37:38], -v[95:96]
	v_fma_f64 v[69:70], v[71:72], v[37:38], v[39:40]
	v_fma_f64 v[71:72], v[73:74], v[41:42], -v[97:98]
	v_fma_f64 v[73:74], v[75:76], v[41:42], v[43:44]
	;; [unrolled: 2-line block ×5, first 2 shown]
	v_fma_f64 v[87:88], v[89:90], v[57:58], -v[105:106]
	v_lshl_add_u32 v37, v16, 4, 0
	v_add_f64_e64 v[54:55], v[65:66], -v[61:62]
	v_fma_f64 v[89:90], v[91:92], v[57:58], v[4:5]
	ds_load_b128 v[4:7], v0
	ds_load_b128 v[38:41], v36
	;; [unrolled: 1-line block ×6, first 2 shown]
	v_add_f64_e64 v[56:57], v[67:68], -v[63:64]
	global_wb scope:SCOPE_SE
	s_wait_dscnt 0x0
	s_barrier_signal -1
	s_barrier_wait -1
	global_inv scope:SCOPE_SE
	v_add_f64_e64 v[58:59], v[4:5], -v[59:60]
	v_add_f64_e64 v[60:61], v[6:7], -v[69:70]
	;; [unrolled: 1-line block ×11, first 2 shown]
	v_fma_f64 v[62:63], v[65:66], 2.0, -v[54:55]
	v_add_f64_e64 v[87:88], v[52:53], -v[89:90]
	v_fma_f64 v[64:65], v[67:68], 2.0, -v[56:57]
	v_fma_f64 v[4:5], v[4:5], 2.0, -v[58:59]
	;; [unrolled: 1-line block ×13, first 2 shown]
	ds_store_b128 v31, v[54:57] offset:5488
	ds_store_b128 v31, v[62:65]
	ds_store_b128 v0, v[4:7]
	ds_store_b128 v0, v[58:61] offset:5488
	ds_store_b128 v36, v[38:41]
	ds_store_b128 v36, v[69:72] offset:5488
	;; [unrolled: 2-line block ×6, first 2 shown]
	global_wb scope:SCOPE_SE
	s_wait_dscnt 0x0
	s_barrier_signal -1
	s_barrier_wait -1
	global_inv scope:SCOPE_SE
	ds_load_b128 v[4:7], v31
                                        ; implicit-def: $vgpr0_vgpr1
                                        ; implicit-def: $vgpr15_vgpr16
                                        ; implicit-def: $vgpr17_vgpr18
	s_and_saveexec_b32 s1, s0
	s_wait_alu 0xfffe
	s_xor_b32 s0, exec_lo, s1
	s_cbranch_execz .LBB0_15
; %bb.14:
	global_load_b128 v[38:41], v[2:3], off offset:10864
	ds_load_b128 v[0:3], v32 offset:10976
	s_wait_dscnt 0x0
	v_add_f64_e64 v[15:16], v[4:5], -v[0:1]
	v_add_f64_e32 v[17:18], v[6:7], v[2:3]
	v_add_f64_e64 v[2:3], v[6:7], -v[2:3]
	v_add_f64_e32 v[0:1], v[4:5], v[0:1]
	s_delay_alu instid0(VALU_DEP_4) | instskip(NEXT) | instid1(VALU_DEP_4)
	v_mul_f64_e32 v[6:7], 0.5, v[15:16]
	v_mul_f64_e32 v[4:5], 0.5, v[17:18]
	s_delay_alu instid0(VALU_DEP_4) | instskip(SKIP_1) | instid1(VALU_DEP_3)
	v_mul_f64_e32 v[2:3], 0.5, v[2:3]
	s_wait_loadcnt 0x0
	v_mul_f64_e32 v[15:16], v[6:7], v[40:41]
	s_delay_alu instid0(VALU_DEP_2) | instskip(SKIP_1) | instid1(VALU_DEP_3)
	v_fma_f64 v[17:18], v[4:5], v[40:41], v[2:3]
	v_fma_f64 v[2:3], v[4:5], v[40:41], -v[2:3]
	v_fma_f64 v[42:43], v[0:1], 0.5, v[15:16]
	v_fma_f64 v[0:1], v[0:1], 0.5, -v[15:16]
	s_delay_alu instid0(VALU_DEP_4) | instskip(NEXT) | instid1(VALU_DEP_4)
	v_fma_f64 v[17:18], -v[38:39], v[6:7], v[17:18]
	v_fma_f64 v[2:3], -v[38:39], v[6:7], v[2:3]
	s_delay_alu instid0(VALU_DEP_4) | instskip(NEXT) | instid1(VALU_DEP_4)
	v_fma_f64 v[15:16], v[4:5], v[38:39], v[42:43]
	v_fma_f64 v[0:1], -v[4:5], v[38:39], v[0:1]
                                        ; implicit-def: $vgpr4_vgpr5
.LBB0_15:
	s_wait_alu 0xfffe
	s_or_saveexec_b32 s0, s0
	v_mul_i32_i24_e32 v14, 0xffffffa0, v14
	s_wait_alu 0xfffe
	s_xor_b32 exec_lo, exec_lo, s0
	s_cbranch_execz .LBB0_17
; %bb.16:
	s_wait_dscnt 0x0
	v_add_f64_e32 v[15:16], v[4:5], v[6:7]
	v_add_f64_e64 v[0:1], v[4:5], -v[6:7]
	v_dual_mov_b32 v6, 0 :: v_dual_mov_b32 v17, 0
	v_mov_b32_e32 v18, 0
	s_delay_alu instid0(VALU_DEP_2)
	v_mov_b32_e32 v2, v17
	ds_load_b64 v[4:5], v6 offset:5496
	v_mov_b32_e32 v3, v18
	s_wait_dscnt 0x0
	v_xor_b32_e32 v5, 0x80000000, v5
	ds_store_b64 v6, v[4:5] offset:5496
.LBB0_17:
	s_or_b32 exec_lo, exec_lo, s0
	s_wait_dscnt 0x0
	s_clause 0x1
	global_load_b128 v[4:7], v[29:30], off offset:10864
	global_load_b128 v[27:30], v[27:28], off offset:10864
	v_add_nc_u32_e32 v35, v35, v14
	ds_store_2addr_b64 v31, v[15:16], v[17:18] offset1:1
	ds_store_b128 v32, v[0:3] offset:10976
	ds_load_b128 v[0:3], v35
	ds_load_b128 v[14:17], v32 offset:10192
	s_wait_dscnt 0x0
	v_add_f64_e64 v[38:39], v[0:1], -v[14:15]
	v_add_f64_e32 v[40:41], v[2:3], v[16:17]
	v_add_f64_e64 v[2:3], v[2:3], -v[16:17]
	v_add_f64_e32 v[0:1], v[0:1], v[14:15]
	s_delay_alu instid0(VALU_DEP_4) | instskip(NEXT) | instid1(VALU_DEP_4)
	v_mul_f64_e32 v[16:17], 0.5, v[38:39]
	v_mul_f64_e32 v[38:39], 0.5, v[40:41]
	s_delay_alu instid0(VALU_DEP_4) | instskip(SKIP_1) | instid1(VALU_DEP_3)
	v_mul_f64_e32 v[2:3], 0.5, v[2:3]
	s_wait_loadcnt 0x1
	v_mul_f64_e32 v[14:15], v[16:17], v[6:7]
	s_delay_alu instid0(VALU_DEP_2) | instskip(SKIP_1) | instid1(VALU_DEP_3)
	v_fma_f64 v[40:41], v[38:39], v[6:7], v[2:3]
	v_fma_f64 v[2:3], v[38:39], v[6:7], -v[2:3]
	v_fma_f64 v[6:7], v[0:1], 0.5, v[14:15]
	v_fma_f64 v[0:1], v[0:1], 0.5, -v[14:15]
	s_delay_alu instid0(VALU_DEP_4) | instskip(NEXT) | instid1(VALU_DEP_4)
	v_fma_f64 v[14:15], -v[4:5], v[16:17], v[40:41]
	v_fma_f64 v[16:17], -v[4:5], v[16:17], v[2:3]
	s_delay_alu instid0(VALU_DEP_4) | instskip(NEXT) | instid1(VALU_DEP_4)
	v_fma_f64 v[6:7], v[38:39], v[4:5], v[6:7]
	v_fma_f64 v[4:5], -v[38:39], v[4:5], v[0:1]
	global_load_b128 v[0:3], v[25:26], off offset:10864
	ds_store_b64 v35, v[14:15] offset:8
	ds_store_b64 v32, v[16:17] offset:10200
	ds_store_b64 v35, v[6:7]
	ds_store_b64 v32, v[4:5] offset:10192
	ds_load_b128 v[4:7], v36
	ds_load_b128 v[14:17], v32 offset:9408
	s_wait_dscnt 0x0
	v_add_f64_e64 v[25:26], v[4:5], -v[14:15]
	v_add_f64_e32 v[38:39], v[6:7], v[16:17]
	v_add_f64_e64 v[6:7], v[6:7], -v[16:17]
	v_add_f64_e32 v[4:5], v[4:5], v[14:15]
	s_delay_alu instid0(VALU_DEP_4) | instskip(NEXT) | instid1(VALU_DEP_4)
	v_mul_f64_e32 v[16:17], 0.5, v[25:26]
	v_mul_f64_e32 v[25:26], 0.5, v[38:39]
	s_delay_alu instid0(VALU_DEP_4) | instskip(SKIP_1) | instid1(VALU_DEP_3)
	v_mul_f64_e32 v[6:7], 0.5, v[6:7]
	s_wait_loadcnt 0x1
	v_mul_f64_e32 v[14:15], v[16:17], v[29:30]
	s_delay_alu instid0(VALU_DEP_2) | instskip(SKIP_1) | instid1(VALU_DEP_3)
	v_fma_f64 v[38:39], v[25:26], v[29:30], v[6:7]
	v_fma_f64 v[6:7], v[25:26], v[29:30], -v[6:7]
	v_fma_f64 v[29:30], v[4:5], 0.5, v[14:15]
	v_fma_f64 v[4:5], v[4:5], 0.5, -v[14:15]
	s_delay_alu instid0(VALU_DEP_4) | instskip(NEXT) | instid1(VALU_DEP_4)
	v_fma_f64 v[38:39], -v[27:28], v[16:17], v[38:39]
	v_fma_f64 v[6:7], -v[27:28], v[16:17], v[6:7]
	global_load_b128 v[14:17], v[23:24], off offset:10864
	v_fma_f64 v[29:30], v[25:26], v[27:28], v[29:30]
	v_fma_f64 v[4:5], -v[25:26], v[27:28], v[4:5]
	ds_store_2addr_b64 v36, v[29:30], v[38:39] offset1:1
	ds_store_b128 v32, v[4:7] offset:9408
	ds_load_b128 v[4:7], v37
	ds_load_b128 v[23:26], v32 offset:8624
	s_wait_dscnt 0x0
	v_add_f64_e64 v[27:28], v[4:5], -v[23:24]
	v_add_f64_e32 v[29:30], v[6:7], v[25:26]
	v_add_f64_e64 v[6:7], v[6:7], -v[25:26]
	v_add_f64_e32 v[4:5], v[4:5], v[23:24]
	s_delay_alu instid0(VALU_DEP_4) | instskip(NEXT) | instid1(VALU_DEP_4)
	v_mul_f64_e32 v[25:26], 0.5, v[27:28]
	v_mul_f64_e32 v[27:28], 0.5, v[29:30]
	s_delay_alu instid0(VALU_DEP_4) | instskip(SKIP_1) | instid1(VALU_DEP_3)
	v_mul_f64_e32 v[6:7], 0.5, v[6:7]
	s_wait_loadcnt 0x1
	v_mul_f64_e32 v[23:24], v[25:26], v[2:3]
	s_delay_alu instid0(VALU_DEP_2) | instskip(SKIP_1) | instid1(VALU_DEP_3)
	v_fma_f64 v[29:30], v[27:28], v[2:3], v[6:7]
	v_fma_f64 v[2:3], v[27:28], v[2:3], -v[6:7]
	v_fma_f64 v[6:7], v[4:5], 0.5, v[23:24]
	v_fma_f64 v[4:5], v[4:5], 0.5, -v[23:24]
	s_delay_alu instid0(VALU_DEP_4) | instskip(NEXT) | instid1(VALU_DEP_4)
	v_fma_f64 v[23:24], -v[0:1], v[25:26], v[29:30]
	v_fma_f64 v[2:3], -v[0:1], v[25:26], v[2:3]
	s_delay_alu instid0(VALU_DEP_4) | instskip(NEXT) | instid1(VALU_DEP_4)
	v_fma_f64 v[25:26], v[27:28], v[0:1], v[6:7]
	v_fma_f64 v[0:1], -v[27:28], v[0:1], v[4:5]
	global_load_b128 v[4:7], v[21:22], off offset:10864
	ds_store_2addr_b64 v37, v[25:26], v[23:24] offset1:1
	ds_store_b128 v32, v[0:3] offset:8624
	ds_load_b128 v[0:3], v33
	ds_load_b128 v[21:24], v32 offset:7840
	s_wait_dscnt 0x0
	v_add_f64_e64 v[25:26], v[0:1], -v[21:22]
	v_add_f64_e32 v[27:28], v[2:3], v[23:24]
	v_add_f64_e64 v[2:3], v[2:3], -v[23:24]
	v_add_f64_e32 v[0:1], v[0:1], v[21:22]
	s_delay_alu instid0(VALU_DEP_4) | instskip(NEXT) | instid1(VALU_DEP_4)
	v_mul_f64_e32 v[23:24], 0.5, v[25:26]
	v_mul_f64_e32 v[25:26], 0.5, v[27:28]
	s_delay_alu instid0(VALU_DEP_4) | instskip(SKIP_1) | instid1(VALU_DEP_3)
	v_mul_f64_e32 v[2:3], 0.5, v[2:3]
	s_wait_loadcnt 0x1
	v_mul_f64_e32 v[21:22], v[23:24], v[16:17]
	s_delay_alu instid0(VALU_DEP_2) | instskip(SKIP_1) | instid1(VALU_DEP_3)
	v_fma_f64 v[27:28], v[25:26], v[16:17], v[2:3]
	v_fma_f64 v[2:3], v[25:26], v[16:17], -v[2:3]
	v_fma_f64 v[16:17], v[0:1], 0.5, v[21:22]
	v_fma_f64 v[0:1], v[0:1], 0.5, -v[21:22]
	s_delay_alu instid0(VALU_DEP_4) | instskip(NEXT) | instid1(VALU_DEP_4)
	v_fma_f64 v[21:22], -v[14:15], v[23:24], v[27:28]
	v_fma_f64 v[2:3], -v[14:15], v[23:24], v[2:3]
	s_delay_alu instid0(VALU_DEP_4) | instskip(NEXT) | instid1(VALU_DEP_4)
	v_fma_f64 v[23:24], v[25:26], v[14:15], v[16:17]
	v_fma_f64 v[0:1], -v[25:26], v[14:15], v[0:1]
	global_load_b128 v[14:17], v[19:20], off offset:10864
	ds_store_2addr_b64 v33, v[23:24], v[21:22] offset1:1
	ds_store_b128 v32, v[0:3] offset:7840
	ds_load_b128 v[0:3], v11
	ds_load_b128 v[18:21], v32 offset:7056
	s_wait_dscnt 0x0
	v_add_f64_e64 v[22:23], v[0:1], -v[18:19]
	v_add_f64_e32 v[24:25], v[2:3], v[20:21]
	v_add_f64_e64 v[2:3], v[2:3], -v[20:21]
	v_add_f64_e32 v[0:1], v[0:1], v[18:19]
	s_delay_alu instid0(VALU_DEP_4) | instskip(NEXT) | instid1(VALU_DEP_4)
	v_mul_f64_e32 v[20:21], 0.5, v[22:23]
	v_mul_f64_e32 v[22:23], 0.5, v[24:25]
	s_delay_alu instid0(VALU_DEP_4) | instskip(SKIP_1) | instid1(VALU_DEP_3)
	v_mul_f64_e32 v[2:3], 0.5, v[2:3]
	s_wait_loadcnt 0x1
	v_mul_f64_e32 v[18:19], v[20:21], v[6:7]
	s_delay_alu instid0(VALU_DEP_2) | instskip(SKIP_1) | instid1(VALU_DEP_3)
	v_fma_f64 v[24:25], v[22:23], v[6:7], v[2:3]
	v_fma_f64 v[2:3], v[22:23], v[6:7], -v[2:3]
	v_fma_f64 v[6:7], v[0:1], 0.5, v[18:19]
	v_fma_f64 v[0:1], v[0:1], 0.5, -v[18:19]
	s_delay_alu instid0(VALU_DEP_4) | instskip(NEXT) | instid1(VALU_DEP_4)
	v_fma_f64 v[18:19], -v[4:5], v[20:21], v[24:25]
	v_fma_f64 v[2:3], -v[4:5], v[20:21], v[2:3]
	s_delay_alu instid0(VALU_DEP_4) | instskip(NEXT) | instid1(VALU_DEP_4)
	v_fma_f64 v[6:7], v[22:23], v[4:5], v[6:7]
	v_fma_f64 v[0:1], -v[22:23], v[4:5], v[0:1]
	ds_store_2addr_b64 v11, v[6:7], v[18:19] offset1:1
	ds_store_b128 v32, v[0:3] offset:7056
	ds_load_b128 v[0:3], v34
	ds_load_b128 v[4:7], v32 offset:6272
	s_wait_dscnt 0x0
	v_add_f64_e64 v[18:19], v[0:1], -v[4:5]
	v_add_f64_e32 v[20:21], v[2:3], v[6:7]
	v_add_f64_e64 v[2:3], v[2:3], -v[6:7]
	v_add_f64_e32 v[0:1], v[0:1], v[4:5]
	s_delay_alu instid0(VALU_DEP_4) | instskip(NEXT) | instid1(VALU_DEP_4)
	v_mul_f64_e32 v[6:7], 0.5, v[18:19]
	v_mul_f64_e32 v[18:19], 0.5, v[20:21]
	s_delay_alu instid0(VALU_DEP_4) | instskip(SKIP_1) | instid1(VALU_DEP_3)
	v_mul_f64_e32 v[2:3], 0.5, v[2:3]
	s_wait_loadcnt 0x0
	v_mul_f64_e32 v[4:5], v[6:7], v[16:17]
	s_delay_alu instid0(VALU_DEP_2) | instskip(SKIP_1) | instid1(VALU_DEP_3)
	v_fma_f64 v[20:21], v[18:19], v[16:17], v[2:3]
	v_fma_f64 v[2:3], v[18:19], v[16:17], -v[2:3]
	v_fma_f64 v[16:17], v[0:1], 0.5, v[4:5]
	v_fma_f64 v[0:1], v[0:1], 0.5, -v[4:5]
	s_delay_alu instid0(VALU_DEP_4) | instskip(NEXT) | instid1(VALU_DEP_4)
	v_fma_f64 v[4:5], -v[14:15], v[6:7], v[20:21]
	v_fma_f64 v[2:3], -v[14:15], v[6:7], v[2:3]
	s_delay_alu instid0(VALU_DEP_4) | instskip(NEXT) | instid1(VALU_DEP_4)
	v_fma_f64 v[6:7], v[18:19], v[14:15], v[16:17]
	v_fma_f64 v[0:1], -v[18:19], v[14:15], v[0:1]
	ds_store_2addr_b64 v34, v[6:7], v[4:5] offset1:1
	ds_store_b128 v32, v[0:3] offset:6272
	global_wb scope:SCOPE_SE
	s_wait_dscnt 0x0
	s_barrier_signal -1
	s_barrier_wait -1
	global_inv scope:SCOPE_SE
	s_and_saveexec_b32 s0, vcc_lo
	s_cbranch_execz .LBB0_20
; %bb.18:
	v_mul_lo_u32 v2, s3, v12
	v_mul_lo_u32 v3, s2, v13
	v_mad_co_u64_u32 v[0:1], null, s2, v12, 0
	v_lshl_add_u32 v30, v10, 4, 0
	v_dual_mov_b32 v11, 0 :: v_dual_add_nc_u32 v14, 49, v10
	v_lshlrev_b64_e32 v[12:13], 4, v[8:9]
	v_add_nc_u32_e32 v28, 0x126, v10
	v_add_nc_u32_e32 v26, 0xf5, v10
	v_add3_u32 v1, v1, v3, v2
	ds_load_b128 v[2:5], v30
	ds_load_b128 v[6:9], v30 offset:784
	v_mov_b32_e32 v15, v11
	v_lshlrev_b64_e32 v[16:17], 4, v[10:11]
	v_mov_b32_e32 v27, v11
	v_lshlrev_b64_e32 v[0:1], 4, v[0:1]
	v_mov_b32_e32 v29, v11
	s_delay_alu instid0(VALU_DEP_3) | instskip(NEXT) | instid1(VALU_DEP_3)
	v_lshlrev_b64_e32 v[26:27], 4, v[26:27]
	v_add_co_u32 v0, vcc_lo, s6, v0
	s_wait_alu 0xfffd
	s_delay_alu instid0(VALU_DEP_4) | instskip(NEXT) | instid1(VALU_DEP_2)
	v_add_co_ci_u32_e32 v1, vcc_lo, s7, v1, vcc_lo
	v_add_co_u32 v0, vcc_lo, v0, v12
	s_wait_alu 0xfffd
	s_delay_alu instid0(VALU_DEP_2) | instskip(SKIP_1) | instid1(VALU_DEP_3)
	v_add_co_ci_u32_e32 v1, vcc_lo, v1, v13, vcc_lo
	v_lshlrev_b64_e32 v[12:13], 4, v[14:15]
	v_add_co_u32 v14, vcc_lo, v0, v16
	s_wait_alu 0xfffd
	s_delay_alu instid0(VALU_DEP_3) | instskip(SKIP_1) | instid1(VALU_DEP_4)
	v_add_co_ci_u32_e32 v15, vcc_lo, v1, v17, vcc_lo
	v_add_nc_u32_e32 v16, 0x62, v10
	v_add_co_u32 v12, vcc_lo, v0, v12
	v_mov_b32_e32 v17, v11
	s_wait_alu 0xfffd
	v_add_co_ci_u32_e32 v13, vcc_lo, v1, v13, vcc_lo
	s_wait_dscnt 0x1
	global_store_b128 v[14:15], v[2:5], off
	s_wait_dscnt 0x0
	global_store_b128 v[12:13], v[6:9], off
	v_add_nc_u32_e32 v12, 0x93, v10
	v_lshlrev_b64_e32 v[2:3], 4, v[16:17]
	v_dual_mov_b32 v13, v11 :: v_dual_add_nc_u32 v14, 0xc4, v10
	v_mov_b32_e32 v15, v11
	s_delay_alu instid0(VALU_DEP_3) | instskip(SKIP_1) | instid1(VALU_DEP_4)
	v_add_co_u32 v20, vcc_lo, v0, v2
	s_wait_alu 0xfffd
	v_add_co_ci_u32_e32 v21, vcc_lo, v1, v3, vcc_lo
	ds_load_b128 v[2:5], v30 offset:1568
	ds_load_b128 v[6:9], v30 offset:2352
	v_lshlrev_b64_e32 v[22:23], 4, v[12:13]
	v_lshlrev_b64_e32 v[24:25], 4, v[14:15]
	ds_load_b128 v[12:15], v30 offset:3136
	ds_load_b128 v[16:19], v30 offset:3920
	v_add_co_u32 v22, vcc_lo, v0, v22
	s_wait_alu 0xfffd
	v_add_co_ci_u32_e32 v23, vcc_lo, v1, v23, vcc_lo
	v_add_co_u32 v24, vcc_lo, v0, v24
	s_wait_alu 0xfffd
	v_add_co_ci_u32_e32 v25, vcc_lo, v1, v25, vcc_lo
	;; [unrolled: 3-line block ×3, first 2 shown]
	s_wait_dscnt 0x3
	global_store_b128 v[20:21], v[2:5], off
	s_wait_dscnt 0x2
	global_store_b128 v[22:23], v[6:9], off
	;; [unrolled: 2-line block ×4, first 2 shown]
	v_add_nc_u32_e32 v12, 0x157, v10
	v_lshlrev_b64_e32 v[2:3], 4, v[28:29]
	v_dual_mov_b32 v13, v11 :: v_dual_add_nc_u32 v14, 0x188, v10
	v_dual_mov_b32 v15, v11 :: v_dual_add_nc_u32 v26, 0x1b9, v10
	;; [unrolled: 1-line block ×3, first 2 shown]
	s_delay_alu instid0(VALU_DEP_4)
	v_add_co_u32 v20, vcc_lo, v0, v2
	s_wait_alu 0xfffd
	v_add_co_ci_u32_e32 v21, vcc_lo, v1, v3, vcc_lo
	ds_load_b128 v[2:5], v30 offset:4704
	ds_load_b128 v[6:9], v30 offset:5488
	v_lshlrev_b64_e32 v[22:23], 4, v[12:13]
	v_lshlrev_b64_e32 v[24:25], 4, v[14:15]
	ds_load_b128 v[12:15], v30 offset:6272
	ds_load_b128 v[16:19], v30 offset:7056
	v_lshlrev_b64_e32 v[26:27], 4, v[26:27]
	v_add_co_u32 v22, vcc_lo, v0, v22
	s_wait_alu 0xfffd
	v_add_co_ci_u32_e32 v23, vcc_lo, v1, v23, vcc_lo
	v_add_co_u32 v24, vcc_lo, v0, v24
	s_wait_alu 0xfffd
	v_add_co_ci_u32_e32 v25, vcc_lo, v1, v25, vcc_lo
	;; [unrolled: 3-line block ×3, first 2 shown]
	s_wait_dscnt 0x3
	global_store_b128 v[20:21], v[2:5], off
	s_wait_dscnt 0x2
	global_store_b128 v[22:23], v[6:9], off
	s_wait_dscnt 0x1
	global_store_b128 v[24:25], v[12:15], off
	s_wait_dscnt 0x0
	global_store_b128 v[26:27], v[16:19], off
	v_lshlrev_b64_e32 v[2:3], 4, v[28:29]
	v_dual_mov_b32 v13, v11 :: v_dual_add_nc_u32 v12, 0x21b, v10
	v_dual_mov_b32 v15, v11 :: v_dual_add_nc_u32 v14, 0x24c, v10
	;; [unrolled: 1-line block ×3, first 2 shown]
	s_delay_alu instid0(VALU_DEP_4)
	v_add_co_u32 v20, vcc_lo, v0, v2
	s_wait_alu 0xfffd
	v_add_co_ci_u32_e32 v21, vcc_lo, v1, v3, vcc_lo
	ds_load_b128 v[2:5], v30 offset:7840
	ds_load_b128 v[6:9], v30 offset:8624
	v_lshlrev_b64_e32 v[22:23], 4, v[12:13]
	v_lshlrev_b64_e32 v[24:25], 4, v[14:15]
	ds_load_b128 v[12:15], v30 offset:9408
	ds_load_b128 v[16:19], v30 offset:10192
	v_lshlrev_b64_e32 v[26:27], 4, v[26:27]
	v_add_co_u32 v22, vcc_lo, v0, v22
	s_wait_alu 0xfffd
	v_add_co_ci_u32_e32 v23, vcc_lo, v1, v23, vcc_lo
	v_add_co_u32 v24, vcc_lo, v0, v24
	s_wait_alu 0xfffd
	v_add_co_ci_u32_e32 v25, vcc_lo, v1, v25, vcc_lo
	;; [unrolled: 3-line block ×3, first 2 shown]
	v_cmp_eq_u32_e32 vcc_lo, 48, v10
	s_wait_dscnt 0x3
	global_store_b128 v[20:21], v[2:5], off
	s_wait_dscnt 0x2
	global_store_b128 v[22:23], v[6:9], off
	s_wait_dscnt 0x1
	global_store_b128 v[24:25], v[12:15], off
	s_wait_dscnt 0x0
	global_store_b128 v[26:27], v[16:19], off
	s_and_b32 exec_lo, exec_lo, vcc_lo
	s_cbranch_execz .LBB0_20
; %bb.19:
	ds_load_b128 v[2:5], v11 offset:10976
	s_wait_dscnt 0x0
	global_store_b128 v[0:1], v[2:5], off offset:10976
.LBB0_20:
	s_nop 0
	s_sendmsg sendmsg(MSG_DEALLOC_VGPRS)
	s_endpgm
	.section	.rodata,"a",@progbits
	.p2align	6, 0x0
	.amdhsa_kernel fft_rtc_fwd_len686_factors_7_7_7_2_wgs_49_tpt_49_dp_op_CI_CI_unitstride_sbrr_R2C_dirReg
		.amdhsa_group_segment_fixed_size 0
		.amdhsa_private_segment_fixed_size 0
		.amdhsa_kernarg_size 104
		.amdhsa_user_sgpr_count 2
		.amdhsa_user_sgpr_dispatch_ptr 0
		.amdhsa_user_sgpr_queue_ptr 0
		.amdhsa_user_sgpr_kernarg_segment_ptr 1
		.amdhsa_user_sgpr_dispatch_id 0
		.amdhsa_user_sgpr_private_segment_size 0
		.amdhsa_wavefront_size32 1
		.amdhsa_uses_dynamic_stack 0
		.amdhsa_enable_private_segment 0
		.amdhsa_system_sgpr_workgroup_id_x 1
		.amdhsa_system_sgpr_workgroup_id_y 0
		.amdhsa_system_sgpr_workgroup_id_z 0
		.amdhsa_system_sgpr_workgroup_info 0
		.amdhsa_system_vgpr_workitem_id 0
		.amdhsa_next_free_vgpr 121
		.amdhsa_next_free_sgpr 39
		.amdhsa_reserve_vcc 1
		.amdhsa_float_round_mode_32 0
		.amdhsa_float_round_mode_16_64 0
		.amdhsa_float_denorm_mode_32 3
		.amdhsa_float_denorm_mode_16_64 3
		.amdhsa_fp16_overflow 0
		.amdhsa_workgroup_processor_mode 1
		.amdhsa_memory_ordered 1
		.amdhsa_forward_progress 0
		.amdhsa_round_robin_scheduling 0
		.amdhsa_exception_fp_ieee_invalid_op 0
		.amdhsa_exception_fp_denorm_src 0
		.amdhsa_exception_fp_ieee_div_zero 0
		.amdhsa_exception_fp_ieee_overflow 0
		.amdhsa_exception_fp_ieee_underflow 0
		.amdhsa_exception_fp_ieee_inexact 0
		.amdhsa_exception_int_div_zero 0
	.end_amdhsa_kernel
	.text
.Lfunc_end0:
	.size	fft_rtc_fwd_len686_factors_7_7_7_2_wgs_49_tpt_49_dp_op_CI_CI_unitstride_sbrr_R2C_dirReg, .Lfunc_end0-fft_rtc_fwd_len686_factors_7_7_7_2_wgs_49_tpt_49_dp_op_CI_CI_unitstride_sbrr_R2C_dirReg
                                        ; -- End function
	.section	.AMDGPU.csdata,"",@progbits
; Kernel info:
; codeLenInByte = 10652
; NumSgprs: 41
; NumVgprs: 121
; ScratchSize: 0
; MemoryBound: 0
; FloatMode: 240
; IeeeMode: 1
; LDSByteSize: 0 bytes/workgroup (compile time only)
; SGPRBlocks: 5
; VGPRBlocks: 15
; NumSGPRsForWavesPerEU: 41
; NumVGPRsForWavesPerEU: 121
; Occupancy: 10
; WaveLimiterHint : 1
; COMPUTE_PGM_RSRC2:SCRATCH_EN: 0
; COMPUTE_PGM_RSRC2:USER_SGPR: 2
; COMPUTE_PGM_RSRC2:TRAP_HANDLER: 0
; COMPUTE_PGM_RSRC2:TGID_X_EN: 1
; COMPUTE_PGM_RSRC2:TGID_Y_EN: 0
; COMPUTE_PGM_RSRC2:TGID_Z_EN: 0
; COMPUTE_PGM_RSRC2:TIDIG_COMP_CNT: 0
	.text
	.p2alignl 7, 3214868480
	.fill 96, 4, 3214868480
	.type	__hip_cuid_aa04f52cbba3ab01,@object ; @__hip_cuid_aa04f52cbba3ab01
	.section	.bss,"aw",@nobits
	.globl	__hip_cuid_aa04f52cbba3ab01
__hip_cuid_aa04f52cbba3ab01:
	.byte	0                               ; 0x0
	.size	__hip_cuid_aa04f52cbba3ab01, 1

	.ident	"AMD clang version 19.0.0git (https://github.com/RadeonOpenCompute/llvm-project roc-6.4.0 25133 c7fe45cf4b819c5991fe208aaa96edf142730f1d)"
	.section	".note.GNU-stack","",@progbits
	.addrsig
	.addrsig_sym __hip_cuid_aa04f52cbba3ab01
	.amdgpu_metadata
---
amdhsa.kernels:
  - .args:
      - .actual_access:  read_only
        .address_space:  global
        .offset:         0
        .size:           8
        .value_kind:     global_buffer
      - .offset:         8
        .size:           8
        .value_kind:     by_value
      - .actual_access:  read_only
        .address_space:  global
        .offset:         16
        .size:           8
        .value_kind:     global_buffer
      - .actual_access:  read_only
        .address_space:  global
        .offset:         24
        .size:           8
        .value_kind:     global_buffer
      - .actual_access:  read_only
        .address_space:  global
        .offset:         32
        .size:           8
        .value_kind:     global_buffer
      - .offset:         40
        .size:           8
        .value_kind:     by_value
      - .actual_access:  read_only
        .address_space:  global
        .offset:         48
        .size:           8
        .value_kind:     global_buffer
      - .actual_access:  read_only
        .address_space:  global
        .offset:         56
        .size:           8
        .value_kind:     global_buffer
      - .offset:         64
        .size:           4
        .value_kind:     by_value
      - .actual_access:  read_only
        .address_space:  global
        .offset:         72
        .size:           8
        .value_kind:     global_buffer
      - .actual_access:  read_only
        .address_space:  global
        .offset:         80
        .size:           8
        .value_kind:     global_buffer
      - .actual_access:  read_only
        .address_space:  global
        .offset:         88
        .size:           8
        .value_kind:     global_buffer
      - .actual_access:  write_only
        .address_space:  global
        .offset:         96
        .size:           8
        .value_kind:     global_buffer
    .group_segment_fixed_size: 0
    .kernarg_segment_align: 8
    .kernarg_segment_size: 104
    .language:       OpenCL C
    .language_version:
      - 2
      - 0
    .max_flat_workgroup_size: 49
    .name:           fft_rtc_fwd_len686_factors_7_7_7_2_wgs_49_tpt_49_dp_op_CI_CI_unitstride_sbrr_R2C_dirReg
    .private_segment_fixed_size: 0
    .sgpr_count:     41
    .sgpr_spill_count: 0
    .symbol:         fft_rtc_fwd_len686_factors_7_7_7_2_wgs_49_tpt_49_dp_op_CI_CI_unitstride_sbrr_R2C_dirReg.kd
    .uniform_work_group_size: 1
    .uses_dynamic_stack: false
    .vgpr_count:     121
    .vgpr_spill_count: 0
    .wavefront_size: 32
    .workgroup_processor_mode: 1
amdhsa.target:   amdgcn-amd-amdhsa--gfx1201
amdhsa.version:
  - 1
  - 2
...

	.end_amdgpu_metadata
